;; amdgpu-corpus repo=ROCm/rocFFT kind=compiled arch=gfx1201 opt=O3
	.text
	.amdgcn_target "amdgcn-amd-amdhsa--gfx1201"
	.amdhsa_code_object_version 6
	.protected	bluestein_single_back_len425_dim1_dp_op_CI_CI ; -- Begin function bluestein_single_back_len425_dim1_dp_op_CI_CI
	.globl	bluestein_single_back_len425_dim1_dp_op_CI_CI
	.p2align	8
	.type	bluestein_single_back_len425_dim1_dp_op_CI_CI,@function
bluestein_single_back_len425_dim1_dp_op_CI_CI: ; @bluestein_single_back_len425_dim1_dp_op_CI_CI
; %bb.0:
	s_load_b128 s[12:15], s[0:1], 0x28
	v_mul_u32_u24_e32 v1, 0xf10, v0
	s_mov_b32 s2, exec_lo
	s_delay_alu instid0(VALU_DEP_1) | instskip(NEXT) | instid1(VALU_DEP_1)
	v_lshrrev_b32_e32 v1, 16, v1
	v_mad_co_u64_u32 v[171:172], null, ttmp9, 3, v[1:2]
	v_mov_b32_e32 v172, 0
	s_wait_kmcnt 0x0
	s_delay_alu instid0(VALU_DEP_1)
	v_cmpx_gt_u64_e64 s[12:13], v[171:172]
	s_cbranch_execz .LBB0_15
; %bb.1:
	s_clause 0x1
	s_load_b128 s[4:7], s[0:1], 0x18
	s_load_b64 s[12:13], s[0:1], 0x0
	v_mul_lo_u16 v1, v1, 17
	v_mul_hi_u32 v73, 0xaaaaaaab, v171
	s_delay_alu instid0(VALU_DEP_2) | instskip(NEXT) | instid1(VALU_DEP_2)
	v_sub_nc_u16 v4, v0, v1
	v_lshrrev_b32_e32 v73, 1, v73
	s_delay_alu instid0(VALU_DEP_2) | instskip(NEXT) | instid1(VALU_DEP_2)
	v_and_b32_e32 v170, 0xffff, v4
	v_lshl_add_u32 v141, v73, 1, v73
	s_wait_kmcnt 0x0
	s_load_b128 s[8:11], s[4:5], 0x0
	s_delay_alu instid0(VALU_DEP_1) | instskip(SKIP_4) | instid1(VALU_DEP_1)
	v_sub_nc_u32_e32 v141, v171, v141
	s_wait_kmcnt 0x0
	v_mad_co_u64_u32 v[0:1], null, s10, v171, 0
	v_mad_co_u64_u32 v[2:3], null, s8, v170, 0
	s_mul_u64 s[2:3], s[8:9], 25
	v_mad_co_u64_u32 v[5:6], null, s11, v171, v[1:2]
	s_delay_alu instid0(VALU_DEP_1) | instskip(NEXT) | instid1(VALU_DEP_3)
	v_mov_b32_e32 v1, v5
	v_mad_co_u64_u32 v[6:7], null, s9, v170, v[3:4]
	v_lshlrev_b32_e32 v174, 4, v170
	s_delay_alu instid0(VALU_DEP_3) | instskip(NEXT) | instid1(VALU_DEP_3)
	v_lshlrev_b64_e32 v[0:1], 4, v[0:1]
	v_mov_b32_e32 v3, v6
	s_clause 0xb
	global_load_b128 v[195:198], v174, s[12:13]
	global_load_b128 v[199:202], v174, s[12:13] offset:400
	global_load_b128 v[191:194], v174, s[12:13] offset:800
	global_load_b128 v[187:190], v174, s[12:13] offset:1200
	global_load_b128 v[183:186], v174, s[12:13] offset:1600
	global_load_b128 v[158:161], v174, s[12:13] offset:2000
	global_load_b128 v[142:145], v174, s[12:13] offset:2400
	global_load_b128 v[146:149], v174, s[12:13] offset:2800
	global_load_b128 v[150:153], v174, s[12:13] offset:3200
	global_load_b128 v[154:157], v174, s[12:13] offset:3600
	global_load_b128 v[162:165], v174, s[12:13] offset:4000
	global_load_b128 v[166:169], v174, s[12:13] offset:4400
	v_lshlrev_b64_e32 v[5:6], 4, v[2:3]
	v_add_co_u32 v2, vcc_lo, s14, v0
	v_add_co_ci_u32_e32 v3, vcc_lo, s15, v1, vcc_lo
	s_lshl_b64 s[14:15], s[2:3], 4
	s_delay_alu instid0(VALU_DEP_2) | instskip(SKIP_1) | instid1(VALU_DEP_2)
	v_add_co_u32 v0, vcc_lo, v2, v5
	s_wait_alu 0xfffd
	v_add_co_ci_u32_e32 v1, vcc_lo, v3, v6, vcc_lo
	s_clause 0x1
	global_load_b128 v[175:178], v174, s[12:13] offset:4800
	global_load_b128 v[179:182], v174, s[12:13] offset:5200
	s_wait_alu 0xfffe
	v_add_co_u32 v9, vcc_lo, v0, s14
	s_wait_alu 0xfffd
	v_add_co_ci_u32_e32 v10, vcc_lo, s15, v1, vcc_lo
	s_delay_alu instid0(VALU_DEP_2) | instskip(SKIP_1) | instid1(VALU_DEP_2)
	v_add_co_u32 v13, vcc_lo, v9, s14
	s_wait_alu 0xfffd
	v_add_co_ci_u32_e32 v14, vcc_lo, s15, v10, vcc_lo
	s_clause 0x1
	global_load_b128 v[5:8], v[0:1], off
	global_load_b128 v[9:12], v[9:10], off
	v_add_co_u32 v17, vcc_lo, v13, s14
	s_wait_alu 0xfffd
	v_add_co_ci_u32_e32 v18, vcc_lo, s15, v14, vcc_lo
	s_delay_alu instid0(VALU_DEP_2) | instskip(SKIP_1) | instid1(VALU_DEP_2)
	v_add_co_u32 v0, vcc_lo, v17, s14
	s_wait_alu 0xfffd
	v_add_co_ci_u32_e32 v1, vcc_lo, s15, v18, vcc_lo
	s_clause 0x1
	global_load_b128 v[13:16], v[13:14], off
	global_load_b128 v[17:20], v[17:18], off
	v_add_co_u32 v25, vcc_lo, v0, s14
	s_wait_alu 0xfffd
	v_add_co_ci_u32_e32 v26, vcc_lo, s15, v1, vcc_lo
	global_load_b128 v[21:24], v[0:1], off
	v_add_co_u32 v0, vcc_lo, v25, s14
	s_wait_alu 0xfffd
	v_add_co_ci_u32_e32 v1, vcc_lo, s15, v26, vcc_lo
	;; [unrolled: 4-line block ×12, first 2 shown]
	s_clause 0x1
	global_load_b128 v[207:210], v174, s[12:13] offset:5600
	global_load_b128 v[203:206], v174, s[12:13] offset:6000
	global_load_b128 v[65:68], v[65:66], off
	global_load_b128 v[211:214], v174, s[12:13] offset:6400
	global_load_b128 v[69:72], v[0:1], off
	v_cmp_gt_u16_e32 vcc_lo, 8, v4
	v_or_b32_e32 v4, 0xc0, v170
	s_wait_loadcnt 0x1f
	s_clause 0x2
	scratch_store_b128 off, v[191:194], off offset:360
	scratch_store_b128 off, v[195:198], off offset:376
	;; [unrolled: 1-line block ×3, first 2 shown]
	s_wait_loadcnt 0x1e
	scratch_store_b128 off, v[187:190], off offset:344 ; 16-byte Folded Spill
	s_wait_loadcnt 0x1d
	scratch_store_b128 off, v[183:186], off offset:328 ; 16-byte Folded Spill
	;; [unrolled: 2-line block ×3, first 2 shown]
	s_wait_loadcnt 0x17
	s_clause 0x4
	scratch_store_b128 off, v[162:165], off offset:256
	scratch_store_b128 off, v[142:145], off offset:176
	;; [unrolled: 1-line block ×5, first 2 shown]
	s_wait_loadcnt 0x16
	scratch_store_b128 off, v[166:169], off offset:272 ; 16-byte Folded Spill
	s_wait_loadcnt 0x15
	scratch_store_b128 off, v[175:178], off offset:288 ; 16-byte Folded Spill
	;; [unrolled: 2-line block ×3, first 2 shown]
	s_wait_loadcnt 0x13
	v_mul_f64_e32 v[73:74], v[7:8], v[197:198]
	v_mul_f64_e32 v[75:76], v[5:6], v[197:198]
	s_wait_loadcnt 0x12
	v_mul_f64_e32 v[77:78], v[11:12], v[201:202]
	v_mul_f64_e32 v[79:80], v[9:10], v[201:202]
	;; [unrolled: 3-line block ×9, first 2 shown]
	v_fma_f64 v[5:6], v[5:6], v[195:196], v[73:74]
	v_fma_f64 v[7:8], v[7:8], v[195:196], -v[75:76]
	v_fma_f64 v[9:10], v[9:10], v[199:200], v[77:78]
	s_wait_loadcnt 0xa
	v_mul_f64_e32 v[109:110], v[43:44], v[156:157]
	v_mul_f64_e32 v[111:112], v[41:42], v[156:157]
	v_fma_f64 v[11:12], v[11:12], v[199:200], -v[79:80]
	v_mul_u32_u24_e32 v73, 0x1a9, v141
	v_mov_b32_e32 v172, v171
	s_wait_loadcnt 0x9
	v_mul_f64_e32 v[113:114], v[47:48], v[164:165]
	v_mul_f64_e32 v[115:116], v[45:46], v[164:165]
	v_fma_f64 v[13:14], v[13:14], v[191:192], v[81:82]
	v_lshlrev_b32_e32 v73, 4, v73
	v_fma_f64 v[15:16], v[15:16], v[191:192], -v[83:84]
	s_wait_loadcnt 0x8
	v_mul_f64_e32 v[117:118], v[51:52], v[168:169]
	v_mul_f64_e32 v[119:120], v[49:50], v[168:169]
	v_fma_f64 v[17:18], v[17:18], v[187:188], v[85:86]
	v_fma_f64 v[19:20], v[19:20], v[187:188], -v[87:88]
	v_fma_f64 v[21:22], v[21:22], v[183:184], v[89:90]
	s_wait_loadcnt 0x7
	v_mul_f64_e32 v[121:122], v[55:56], v[177:178]
	v_mul_f64_e32 v[123:124], v[53:54], v[177:178]
	v_fma_f64 v[23:24], v[23:24], v[183:184], -v[91:92]
	v_fma_f64 v[25:26], v[25:26], v[158:159], v[93:94]
	v_fma_f64 v[27:28], v[27:28], v[158:159], -v[95:96]
	s_wait_loadcnt 0x6
	v_mul_f64_e32 v[125:126], v[59:60], v[181:182]
	v_mul_f64_e32 v[127:128], v[57:58], v[181:182]
	scratch_store_b64 off, v[172:173], off offset:304 ; 8-byte Folded Spill
	v_fma_f64 v[29:30], v[29:30], v[142:143], v[97:98]
	v_fma_f64 v[31:32], v[31:32], v[142:143], -v[99:100]
	v_add_nc_u32_e32 v229, v174, v73
	s_wait_loadcnt 0x4
	v_mul_f64_e32 v[129:130], v[63:64], v[209:210]
	v_mul_f64_e32 v[131:132], v[61:62], v[209:210]
	s_wait_loadcnt 0x2
	v_mul_f64_e32 v[133:134], v[67:68], v[205:206]
	v_mul_f64_e32 v[135:136], v[65:66], v[205:206]
	;; [unrolled: 3-line block ×3, first 2 shown]
	v_fma_f64 v[33:34], v[33:34], v[146:147], v[101:102]
	v_fma_f64 v[35:36], v[35:36], v[146:147], -v[103:104]
	v_fma_f64 v[37:38], v[37:38], v[150:151], v[105:106]
	v_fma_f64 v[39:40], v[39:40], v[150:151], -v[107:108]
	s_clause 0x1
	scratch_store_b128 off, v[207:210], off offset:424
	scratch_store_b128 off, v[211:214], off offset:440
	v_fma_f64 v[41:42], v[41:42], v[154:155], v[109:110]
	v_fma_f64 v[43:44], v[43:44], v[154:155], -v[111:112]
	scratch_store_b128 off, v[203:206], off offset:408 ; 16-byte Folded Spill
	s_load_b64 s[10:11], s[0:1], 0x38
	s_load_b128 s[4:7], s[6:7], 0x0
	scratch_store_b32 off, v73, off offset:20 ; 4-byte Folded Spill
	v_fma_f64 v[45:46], v[45:46], v[162:163], v[113:114]
	v_fma_f64 v[47:48], v[47:48], v[162:163], -v[115:116]
	v_add_co_u32 v73, s2, s12, v174
	s_delay_alu instid0(VALU_DEP_1)
	v_add_co_ci_u32_e64 v74, null, s13, 0, s2
	v_fma_f64 v[49:50], v[49:50], v[166:167], v[117:118]
	v_fma_f64 v[51:52], v[51:52], v[166:167], -v[119:120]
	scratch_store_b64 off, v[73:74], off offset:4 ; 8-byte Folded Spill
	v_fma_f64 v[53:54], v[53:54], v[175:176], v[121:122]
	v_fma_f64 v[55:56], v[55:56], v[175:176], -v[123:124]
	ds_store_b128 v229, v[5:8]
	ds_store_b128 v229, v[9:12] offset:400
	ds_store_b128 v229, v[13:16] offset:800
	;; [unrolled: 1-line block ×11, first 2 shown]
	v_fma_f64 v[57:58], v[57:58], v[179:180], v[125:126]
	v_fma_f64 v[59:60], v[59:60], v[179:180], -v[127:128]
	v_fma_f64 v[61:62], v[61:62], v[207:208], v[129:130]
	v_fma_f64 v[63:64], v[63:64], v[207:208], -v[131:132]
	;; [unrolled: 2-line block ×4, first 2 shown]
	s_clause 0x1
	scratch_store_b32 off, v4, off offset:1392
	scratch_store_b32 off, v170, off
	v_or_b32_e32 v4, 0x188, v170
	scratch_store_b32 off, v4, off offset:1388 ; 4-byte Folded Spill
	ds_store_b128 v229, v[53:56] offset:4800
	ds_store_b128 v229, v[57:60] offset:5200
	;; [unrolled: 1-line block ×5, first 2 shown]
	s_and_saveexec_b32 s3, vcc_lo
	s_cbranch_execz .LBB0_3
; %bb.2:
	s_clause 0x1
	scratch_load_b32 v46, off, off
	scratch_load_b64 v[128:129], off, off offset:4
	v_mad_co_u64_u32 v[0:1], null, 0xffffe810, s8, v[0:1]
	s_mul_i32 s2, s9, 0xffffe810
	s_mul_i32 s16, s9, 0x320
	s_wait_alu 0xfffe
	s_sub_co_i32 s2, s2, s8
	s_wait_loadcnt 0x0
	s_clause 0x1
	global_load_b128 v[4:7], v[128:129], off offset:272
	global_load_b128 v[8:11], v[128:129], off offset:672
	v_or_b32_e32 v27, 0xc0, v46
	v_or_b32_e32 v70, 0x188, v46
	s_delay_alu instid0(VALU_DEP_2) | instskip(SKIP_4) | instid1(VALU_DEP_4)
	v_mad_co_u64_u32 v[44:45], null, s8, v27, 0
	s_wait_alu 0xfffe
	v_add_nc_u32_e32 v1, s2, v1
	v_add_co_u32 v16, s2, v0, s14
	v_mad_co_u64_u32 v[72:73], null, s8, v70, 0
	v_mov_b32_e32 v26, v45
	s_wait_alu 0xf1ff
	v_add_co_ci_u32_e64 v17, s2, s15, v1, s2
	v_add_co_u32 v24, s2, v16, s14
	s_delay_alu instid0(VALU_DEP_3) | instskip(SKIP_1) | instid1(VALU_DEP_3)
	v_mad_co_u64_u32 v[28:29], null, s9, v27, v[26:27]
	s_wait_alu 0xf1ff
	v_add_co_ci_u32_e64 v25, s2, s15, v17, s2
	global_load_b128 v[12:15], v[0:1], off
	global_load_b128 v[16:19], v[16:17], off
	;; [unrolled: 1-line block ×3, first 2 shown]
	v_add_co_u32 v0, s2, v24, s14
	s_wait_alu 0xf1ff
	v_add_co_ci_u32_e64 v1, s2, s15, v25, s2
	v_mov_b32_e32 v45, v28
	s_delay_alu instid0(VALU_DEP_3) | instskip(SKIP_1) | instid1(VALU_DEP_3)
	v_add_co_u32 v36, s2, v0, s14
	s_wait_alu 0xf1ff
	v_add_co_ci_u32_e64 v37, s2, s15, v1, s2
	global_load_b128 v[24:27], v[0:1], off
	v_add_co_u32 v0, s2, v36, s14
	s_wait_alu 0xf1ff
	v_add_co_ci_u32_e64 v1, s2, s15, v37, s2
	s_clause 0x1
	global_load_b128 v[28:31], v[128:129], off offset:1072
	global_load_b128 v[32:35], v[128:129], off offset:1472
	global_load_b128 v[36:39], v[36:37], off
	global_load_b128 v[40:43], v[0:1], off
	v_add_co_u32 v0, s2, v0, s14
	v_lshlrev_b64_e32 v[44:45], 4, v[44:45]
	s_wait_alu 0xf1ff
	v_add_co_ci_u32_e64 v1, s2, s15, v1, s2
	s_delay_alu instid0(VALU_DEP_1) | instskip(NEXT) | instid1(VALU_DEP_3)
	v_mad_co_u64_u32 v[68:69], null, 0x320, s8, v[0:1]
	v_add_co_u32 v56, s2, v2, v44
	s_wait_alu 0xf1ff
	v_add_co_ci_u32_e64 v57, s2, v3, v45, s2
	s_clause 0x1
	global_load_b128 v[44:47], v[128:129], off offset:1872
	global_load_b128 v[48:51], v[128:129], off offset:2272
	global_load_b128 v[52:55], v[0:1], off
	global_load_b128 v[56:59], v[56:57], off
	v_dual_mov_b32 v0, v73 :: v_dual_add_nc_u32 v69, s16, v69
	v_add_co_u32 v76, s2, v68, s14
	s_clause 0x1
	global_load_b128 v[60:63], v[128:129], off offset:2672
	global_load_b128 v[64:67], v[128:129], off offset:3072
	v_mad_co_u64_u32 v[0:1], null, s9, v70, v[0:1]
	s_wait_alu 0xf1ff
	v_add_co_ci_u32_e64 v77, s2, s15, v69, s2
	v_add_co_u32 v88, s2, v76, s14
	global_load_b128 v[68:71], v[68:69], off
	s_wait_alu 0xf1ff
	v_add_co_ci_u32_e64 v89, s2, s15, v77, s2
	v_mov_b32_e32 v73, v0
	v_add_co_u32 v92, s2, v88, s14
	s_wait_alu 0xf1ff
	s_delay_alu instid0(VALU_DEP_3) | instskip(NEXT) | instid1(VALU_DEP_3)
	v_add_co_ci_u32_e64 v93, s2, s15, v89, s2
	v_lshlrev_b64_e32 v[0:1], 4, v[72:73]
	s_delay_alu instid0(VALU_DEP_3) | instskip(SKIP_1) | instid1(VALU_DEP_3)
	v_add_co_u32 v104, s2, v92, s14
	s_wait_alu 0xf1ff
	v_add_co_ci_u32_e64 v105, s2, s15, v93, s2
	s_delay_alu instid0(VALU_DEP_3)
	v_add_co_u32 v0, s2, v2, v0
	s_wait_alu 0xf1ff
	v_add_co_ci_u32_e64 v1, s2, v3, v1, s2
	v_add_co_u32 v108, s2, v104, s14
	s_wait_alu 0xf1ff
	v_add_co_ci_u32_e64 v109, s2, s15, v105, s2
	global_load_b128 v[0:3], v[0:1], off
	global_load_b128 v[72:75], v[128:129], off offset:6272
	v_add_co_u32 v124, s2, v108, s14
	s_wait_alu 0xf1ff
	v_add_co_ci_u32_e64 v125, s2, s15, v109, s2
	global_load_b128 v[76:79], v[76:77], off
	s_clause 0x1
	global_load_b128 v[80:83], v[128:129], off offset:3472
	global_load_b128 v[84:87], v[128:129], off offset:3872
	global_load_b128 v[88:91], v[88:89], off
	global_load_b128 v[92:95], v[92:93], off
	s_clause 0x1
	global_load_b128 v[96:99], v[128:129], off offset:4272
	global_load_b128 v[100:103], v[128:129], off offset:4672
	global_load_b128 v[104:107], v[104:105], off
	global_load_b128 v[108:111], v[108:109], off
	global_load_b128 v[112:115], v[128:129], off offset:5072
	v_mad_co_u64_u32 v[132:133], null, 0x320, s8, v[124:125]
	s_delay_alu instid0(VALU_DEP_1)
	v_add_nc_u32_e32 v133, s16, v133
	s_clause 0x1
	global_load_b128 v[116:119], v[128:129], off offset:5472
	global_load_b128 v[120:123], v[128:129], off offset:5872
	global_load_b128 v[124:127], v[124:125], off
	global_load_b128 v[128:131], v[128:129], off offset:6672
	global_load_b128 v[132:135], v[132:133], off
	s_wait_loadcnt 0x1f
	v_mul_f64_e32 v[136:137], v[14:15], v[6:7]
	v_mul_f64_e32 v[6:7], v[12:13], v[6:7]
	s_wait_loadcnt 0x1e
	v_mul_f64_e32 v[138:139], v[18:19], v[10:11]
	v_mul_f64_e32 v[140:141], v[16:17], v[10:11]
	;; [unrolled: 3-line block ×8, first 2 shown]
	v_fma_f64 v[10:11], v[12:13], v[4:5], v[136:137]
	v_fma_f64 v[12:13], v[14:15], v[4:5], -v[6:7]
	v_fma_f64 v[4:5], v[16:17], v[8:9], v[138:139]
	v_fma_f64 v[6:7], v[18:19], v[8:9], -v[140:141]
	;; [unrolled: 2-line block ×4, first 2 shown]
	s_wait_loadcnt 0xf
	v_mul_f64_e32 v[150:151], v[2:3], v[74:75]
	v_mul_f64_e32 v[74:75], v[0:1], v[74:75]
	s_wait_loadcnt 0x9
	v_mul_f64_e32 v[160:161], v[90:91], v[98:99]
	v_mul_f64_e32 v[98:99], v[88:89], v[98:99]
	;; [unrolled: 1-line block ×6, first 2 shown]
	s_wait_loadcnt 0x8
	v_mul_f64_e32 v[162:163], v[94:95], v[102:103]
	v_mul_f64_e32 v[102:103], v[92:93], v[102:103]
	s_wait_loadcnt 0x5
	v_mul_f64_e32 v[164:165], v[106:107], v[114:115]
	v_mul_f64_e32 v[114:115], v[104:105], v[114:115]
	v_fma_f64 v[22:23], v[36:37], v[44:45], v[146:147]
	s_wait_loadcnt 0x4
	v_mul_f64_e32 v[166:167], v[110:111], v[118:119]
	v_mul_f64_e32 v[118:119], v[108:109], v[118:119]
	s_wait_loadcnt 0x2
	v_mul_f64_e32 v[168:169], v[126:127], v[122:123]
	v_mul_f64_e32 v[122:123], v[124:125], v[122:123]
	;; [unrolled: 3-line block ×3, first 2 shown]
	v_fma_f64 v[24:25], v[38:39], v[44:45], -v[46:47]
	v_fma_f64 v[30:31], v[40:41], v[48:49], v[152:153]
	v_fma_f64 v[32:33], v[42:43], v[48:49], -v[50:51]
	v_fma_f64 v[34:35], v[52:53], v[60:61], v[154:155]
	v_fma_f64 v[36:37], v[54:55], v[60:61], -v[62:63]
	v_fma_f64 v[26:27], v[56:57], v[64:65], v[148:149]
	v_fma_f64 v[28:29], v[58:59], v[64:65], -v[66:67]
	v_fma_f64 v[0:1], v[0:1], v[72:73], v[150:151]
	v_fma_f64 v[2:3], v[2:3], v[72:73], -v[74:75]
	v_fma_f64 v[46:47], v[88:89], v[96:97], v[160:161]
	v_fma_f64 v[48:49], v[90:91], v[96:97], -v[98:99]
	v_fma_f64 v[38:39], v[68:69], v[80:81], v[156:157]
	v_fma_f64 v[40:41], v[70:71], v[80:81], -v[82:83]
	v_fma_f64 v[42:43], v[76:77], v[84:85], v[158:159]
	v_fma_f64 v[44:45], v[78:79], v[84:85], -v[86:87]
	v_fma_f64 v[50:51], v[92:93], v[100:101], v[162:163]
	v_fma_f64 v[52:53], v[94:95], v[100:101], -v[102:103]
	v_fma_f64 v[54:55], v[104:105], v[112:113], v[164:165]
	v_fma_f64 v[56:57], v[106:107], v[112:113], -v[114:115]
	v_fma_f64 v[58:59], v[108:109], v[116:117], v[166:167]
	v_fma_f64 v[60:61], v[110:111], v[116:117], -v[118:119]
	v_fma_f64 v[62:63], v[124:125], v[120:121], v[168:169]
	v_fma_f64 v[64:65], v[126:127], v[120:121], -v[122:123]
	v_fma_f64 v[66:67], v[132:133], v[128:129], v[170:171]
	v_fma_f64 v[68:69], v[134:135], v[128:129], -v[130:131]
	ds_store_b128 v229, v[10:13] offset:272
	ds_store_b128 v229, v[4:7] offset:672
	;; [unrolled: 1-line block ×17, first 2 shown]
.LBB0_3:
	s_wait_alu 0xfffe
	s_or_b32 exec_lo, exec_lo, s3
	global_wb scope:SCOPE_SE
	s_wait_storecnt_dscnt 0x0
	s_wait_kmcnt 0x0
	s_barrier_signal -1
	s_barrier_wait -1
	global_inv scope:SCOPE_SE
	ds_load_b128 v[68:71], v229
	ds_load_b128 v[24:27], v229 offset:400
	ds_load_b128 v[96:99], v229 offset:800
	;; [unrolled: 1-line block ×16, first 2 shown]
	s_load_b64 s[0:1], s[0:1], 0x8
                                        ; implicit-def: $vgpr8_vgpr9
                                        ; implicit-def: $vgpr20_vgpr21
                                        ; implicit-def: $vgpr72_vgpr73
                                        ; implicit-def: $vgpr76_vgpr77
                                        ; implicit-def: $vgpr80_vgpr81
                                        ; implicit-def: $vgpr84_vgpr85
                                        ; implicit-def: $vgpr88_vgpr89
                                        ; implicit-def: $vgpr92_vgpr93
                                        ; implicit-def: $vgpr108_vgpr109
                                        ; implicit-def: $vgpr116_vgpr117
                                        ; implicit-def: $vgpr120_vgpr121
                                        ; implicit-def: $vgpr144_vgpr145
                                        ; implicit-def: $vgpr112_vgpr113
                                        ; implicit-def: $vgpr16_vgpr17
                                        ; implicit-def: $vgpr12_vgpr13
                                        ; implicit-def: $vgpr4_vgpr5
                                        ; implicit-def: $vgpr0_vgpr1
	s_and_saveexec_b32 s2, vcc_lo
	s_cbranch_execz .LBB0_5
; %bb.4:
	ds_load_b128 v[8:11], v229 offset:272
	ds_load_b128 v[20:23], v229 offset:672
	;; [unrolled: 1-line block ×17, first 2 shown]
.LBB0_5:
	s_wait_alu 0xfffe
	s_or_b32 exec_lo, exec_lo, s2
	s_wait_dscnt 0xf
	v_add_f64_e32 v[34:35], v[70:71], v[26:27]
	v_add_f64_e32 v[32:33], v[68:69], v[24:25]
	s_wait_dscnt 0x7
	v_add_f64_e64 v[177:178], v[170:171], -v[166:167]
	s_wait_dscnt 0x6
	v_add_f64_e64 v[181:182], v[158:159], -v[162:163]
	v_add_f64_e64 v[175:176], v[168:169], -v[164:165]
	;; [unrolled: 1-line block ×3, first 2 shown]
	s_mov_b32 s40, 0x2a9d6da3
	s_mov_b32 s41, 0xbfe58eea
	s_wait_dscnt 0x0
	v_add_f64_e32 v[36:37], v[26:27], v[102:103]
	v_add_f64_e64 v[38:39], v[24:25], -v[100:101]
	s_mov_b32 s36, 0x5d8e7cdc
	s_mov_b32 s42, 0x7c9e640b
	;; [unrolled: 1-line block ×16, first 2 shown]
	v_add_f64_e64 v[187:188], v[98:99], -v[126:127]
	s_mov_b32 s8, 0x370991
	s_mov_b32 s20, 0x2b2883cd
	;; [unrolled: 1-line block ×11, first 2 shown]
	v_add_f64_e32 v[34:35], v[34:35], v[98:99]
	v_add_f64_e32 v[32:33], v[32:33], v[96:97]
	s_mov_b32 s19, 0xbfe348c8
	s_mov_b32 s15, 0xbfeb34fa
	;; [unrolled: 1-line block ×3, first 2 shown]
	v_add_f64_e64 v[183:184], v[128:129], -v[140:141]
	v_add_f64_e64 v[185:186], v[130:131], -v[142:143]
	;; [unrolled: 1-line block ×3, first 2 shown]
	s_mov_b32 s53, 0x3fe0d888
	v_mul_f64_e32 v[64:65], s[38:39], v[38:39]
	v_mul_f64_e32 v[58:59], s[40:41], v[38:39]
	;; [unrolled: 1-line block ×4, first 2 shown]
	s_mov_b32 s52, s30
	s_mov_b32 s49, 0x3feec746
	;; [unrolled: 1-line block ×15, first 2 shown]
	v_add_f64_e64 v[230:231], v[22:23], -v[2:3]
	v_add_f64_e64 v[232:233], v[74:75], -v[6:7]
	v_add_f64_e32 v[249:250], v[20:21], v[0:1]
	v_add_f64_e64 v[236:237], v[72:73], -v[4:5]
	v_add_f64_e64 v[234:235], v[20:21], -v[0:1]
	;; [unrolled: 1-line block ×7, first 2 shown]
	v_add_f64_e32 v[34:35], v[34:35], v[106:107]
	v_add_f64_e32 v[32:33], v[32:33], v[104:105]
	v_add_f64_e64 v[251:252], v[84:85], -v[112:113]
	v_add_f64_e64 v[253:254], v[90:91], -v[146:147]
	v_fma_f64 v[189:190], v[36:37], s[24:25], v[64:65]
	v_fma_f64 v[64:65], v[36:37], s[24:25], -v[64:65]
	v_fma_f64 v[191:192], v[36:37], s[22:23], v[66:67]
	v_fma_f64 v[193:194], v[36:37], s[22:23], -v[66:67]
	v_mul_f64_e32 v[225:226], s[30:31], v[230:231]
	v_mul_f64_e32 v[227:228], s[30:31], v[234:235]
	v_add_f64_e32 v[34:35], v[34:35], v[130:131]
	v_add_f64_e32 v[32:33], v[32:33], v[128:129]
	;; [unrolled: 1-line block ×3, first 2 shown]
	s_delay_alu instid0(VALU_DEP_3) | instskip(NEXT) | instid1(VALU_DEP_3)
	v_add_f64_e32 v[34:35], v[34:35], v[138:139]
	v_add_f64_e32 v[32:33], v[32:33], v[136:137]
	s_delay_alu instid0(VALU_DEP_2) | instskip(NEXT) | instid1(VALU_DEP_2)
	v_add_f64_e32 v[34:35], v[34:35], v[150:151]
	v_add_f64_e32 v[32:33], v[32:33], v[148:149]
	s_delay_alu instid0(VALU_DEP_2) | instskip(NEXT) | instid1(VALU_DEP_2)
	v_add_f64_e32 v[34:35], v[34:35], v[158:159]
	v_add_f64_e32 v[32:33], v[32:33], v[156:157]
	s_delay_alu instid0(VALU_DEP_2) | instskip(NEXT) | instid1(VALU_DEP_2)
	v_add_f64_e32 v[34:35], v[34:35], v[170:171]
	v_add_f64_e32 v[32:33], v[32:33], v[168:169]
	;; [unrolled: 1-line block ×4, first 2 shown]
	s_delay_alu instid0(VALU_DEP_4) | instskip(NEXT) | instid1(VALU_DEP_4)
	v_add_f64_e32 v[34:35], v[34:35], v[166:167]
	v_add_f64_e32 v[32:33], v[32:33], v[164:165]
	;; [unrolled: 1-line block ×8, first 2 shown]
	v_add_f64_e64 v[162:163], v[150:151], -v[154:155]
	v_add_f64_e32 v[150:151], v[138:139], v[30:31]
	v_add_f64_e64 v[160:161], v[148:149], -v[152:153]
	v_add_f64_e32 v[148:149], v[136:137], v[28:29]
	v_add_f64_e32 v[34:35], v[34:35], v[154:155]
	;; [unrolled: 1-line block ×3, first 2 shown]
	v_add_f64_e64 v[154:155], v[138:139], -v[30:31]
	v_add_f64_e64 v[152:153], v[136:137], -v[28:29]
	v_add_f64_e32 v[136:137], v[128:129], v[140:141]
	v_add_f64_e32 v[138:139], v[130:131], v[142:143]
	;; [unrolled: 1-line block ×6, first 2 shown]
	v_add_f64_e64 v[32:33], v[26:27], -v[102:103]
	v_add_f64_e32 v[34:35], v[24:25], v[100:101]
	s_delay_alu instid0(VALU_DEP_4) | instskip(NEXT) | instid1(VALU_DEP_4)
	v_add_f64_e32 v[30:31], v[30:31], v[142:143]
	v_add_f64_e32 v[28:29], v[28:29], v[140:141]
	s_delay_alu instid0(VALU_DEP_4)
	v_mul_f64_e32 v[40:41], s[42:43], v[32:33]
	v_mul_f64_e32 v[42:43], s[38:39], v[32:33]
	v_mul_f64_e32 v[44:45], s[26:27], v[32:33]
	v_mul_f64_e32 v[46:47], s[28:29], v[32:33]
	v_mul_f64_e32 v[48:49], s[30:31], v[32:33]
	v_add_f64_e64 v[140:141], v[104:105], -v[132:133]
	v_add_f64_e64 v[142:143], v[106:107], -v[134:135]
	s_wait_alu 0xfffe
	v_fma_f64 v[106:107], v[36:37], s[16:17], v[58:59]
	v_fma_f64 v[58:59], v[36:37], s[16:17], -v[58:59]
	v_add_f64_e32 v[30:31], v[30:31], v[134:135]
	v_add_f64_e32 v[28:29], v[28:29], v[132:133]
	;; [unrolled: 1-line block ×4, first 2 shown]
	v_fma_f64 v[54:55], v[34:35], s[20:21], -v[40:41]
	v_fma_f64 v[40:41], v[34:35], s[20:21], v[40:41]
	v_fma_f64 v[56:57], v[34:35], s[24:25], -v[42:43]
	v_fma_f64 v[42:43], v[34:35], s[24:25], v[42:43]
	;; [unrolled: 2-line block ×4, first 2 shown]
	v_mul_f64_e32 v[98:99], s[28:29], v[38:39]
	v_add_f64_e32 v[213:214], v[70:71], v[58:59]
	v_add_f64_e32 v[209:210], v[70:71], v[106:107]
	;; [unrolled: 1-line block ×4, first 2 shown]
	v_fma_f64 v[126:127], v[36:37], s[20:21], v[62:63]
	v_fma_f64 v[62:63], v[36:37], s[20:21], -v[62:63]
	v_add_f64_e32 v[54:55], v[68:69], v[54:55]
	v_add_f64_e32 v[217:218], v[68:69], v[40:41]
	;; [unrolled: 1-line block ×8, first 2 shown]
	v_fma_f64 v[197:198], v[36:37], s[18:19], v[98:99]
	v_fma_f64 v[199:200], v[36:37], s[18:19], -v[98:99]
	v_add_f64_e32 v[98:99], v[68:69], v[46:47]
	v_add_f64_e32 v[60:61], v[70:71], v[193:194]
	;; [unrolled: 1-line block ×3, first 2 shown]
	v_mul_f64_e32 v[30:31], s[40:41], v[32:33]
	v_add_f64_e32 v[24:25], v[28:29], v[100:101]
	v_mul_f64_e32 v[28:29], s[36:37], v[32:33]
	v_mul_f64_e32 v[32:33], s[34:35], v[32:33]
	v_fma_f64 v[100:101], v[34:35], s[14:15], -v[48:49]
	v_fma_f64 v[48:49], v[34:35], s[14:15], v[48:49]
	v_mul_f64_e32 v[102:103], s[30:31], v[38:39]
	v_add_f64_e32 v[219:220], v[70:71], v[62:63]
	v_add_f64_e32 v[62:63], v[68:69], v[44:45]
	;; [unrolled: 1-line block ×5, first 2 shown]
	v_fma_f64 v[52:53], v[34:35], s[16:17], -v[30:31]
	v_fma_f64 v[30:31], v[34:35], s[16:17], v[30:31]
	v_fma_f64 v[50:51], v[34:35], s[8:9], -v[28:29]
	v_fma_f64 v[28:29], v[34:35], s[8:9], v[28:29]
	;; [unrolled: 2-line block ×3, first 2 shown]
	v_mul_f64_e32 v[34:35], s[36:37], v[38:39]
	v_mul_f64_e32 v[38:39], s[34:35], v[38:39]
	v_fma_f64 v[201:202], v[36:37], s[14:15], v[102:103]
	v_fma_f64 v[203:204], v[36:37], s[14:15], -v[102:103]
	v_add_f64_e32 v[106:107], v[68:69], v[48:49]
	v_add_f64_e32 v[102:103], v[68:69], v[100:101]
	;; [unrolled: 1-line block ×4, first 2 shown]
	v_mul_f64_e32 v[30:31], s[40:41], v[187:188]
	v_add_f64_e32 v[28:29], v[68:69], v[28:29]
	v_add_f64_e32 v[126:127], v[68:69], v[124:125]
	;; [unrolled: 1-line block ×3, first 2 shown]
	v_fma_f64 v[104:105], v[36:37], s[8:9], v[34:35]
	v_fma_f64 v[34:35], v[36:37], s[8:9], -v[34:35]
	v_fma_f64 v[205:206], v[36:37], s[2:3], v[38:39]
	v_fma_f64 v[36:37], v[36:37], s[2:3], -v[38:39]
	v_add_f64_e32 v[38:39], v[68:69], v[50:51]
	v_add_f64_e32 v[100:101], v[70:71], v[201:202]
	v_fma_f64 v[32:33], v[132:133], s[16:17], -v[30:31]
	v_fma_f64 v[30:31], v[132:133], s[16:17], v[30:31]
	v_add_f64_e32 v[50:51], v[70:71], v[104:105]
	v_add_f64_e32 v[207:208], v[70:71], v[34:35]
	;; [unrolled: 1-line block ×4, first 2 shown]
	v_mul_f64_e32 v[36:37], s[40:41], v[172:173]
	v_add_f64_e32 v[124:125], v[70:71], v[205:206]
	v_mul_f64_e32 v[205:206], s[46:47], v[177:178]
	v_add_f64_e32 v[32:33], v[32:33], v[38:39]
	;; [unrolled: 2-line block ×3, first 2 shown]
	v_fma_f64 v[34:35], v[134:135], s[16:17], v[36:37]
	v_fma_f64 v[30:31], v[134:135], s[16:17], -v[36:37]
	s_delay_alu instid0(VALU_DEP_4) | instskip(SKIP_1) | instid1(VALU_DEP_4)
	v_fma_f64 v[40:41], v[128:129], s[20:21], -v[38:39]
	v_fma_f64 v[36:37], v[128:129], s[20:21], v[38:39]
	v_add_f64_e32 v[34:35], v[34:35], v[50:51]
	s_delay_alu instid0(VALU_DEP_4) | instskip(NEXT) | instid1(VALU_DEP_4)
	v_add_f64_e32 v[30:31], v[30:31], v[207:208]
	v_add_f64_e32 v[32:33], v[40:41], v[32:33]
	v_mul_f64_e32 v[40:41], s[42:43], v[140:141]
	v_add_f64_e32 v[28:29], v[36:37], v[28:29]
	s_delay_alu instid0(VALU_DEP_2) | instskip(SKIP_1) | instid1(VALU_DEP_2)
	v_fma_f64 v[42:43], v[130:131], s[20:21], v[40:41]
	v_fma_f64 v[36:37], v[130:131], s[20:21], -v[40:41]
	v_add_f64_e32 v[34:35], v[42:43], v[34:35]
	v_mul_f64_e32 v[42:43], s[38:39], v[185:186]
	s_delay_alu instid0(VALU_DEP_3) | instskip(NEXT) | instid1(VALU_DEP_2)
	v_add_f64_e32 v[30:31], v[36:37], v[30:31]
	v_fma_f64 v[44:45], v[136:137], s[24:25], -v[42:43]
	v_fma_f64 v[36:37], v[136:137], s[24:25], v[42:43]
	s_delay_alu instid0(VALU_DEP_2) | instskip(SKIP_1) | instid1(VALU_DEP_3)
	v_add_f64_e32 v[32:33], v[44:45], v[32:33]
	v_mul_f64_e32 v[44:45], s[38:39], v[183:184]
	v_add_f64_e32 v[28:29], v[36:37], v[28:29]
	s_delay_alu instid0(VALU_DEP_2) | instskip(SKIP_2) | instid1(VALU_DEP_3)
	v_fma_f64 v[46:47], v[138:139], s[24:25], v[44:45]
	v_fma_f64 v[36:37], v[138:139], s[24:25], -v[44:45]
	v_mul_f64_e32 v[44:45], s[38:39], v[172:173]
	v_add_f64_e32 v[34:35], v[46:47], v[34:35]
	v_mul_f64_e32 v[46:47], s[26:27], v[154:155]
	s_delay_alu instid0(VALU_DEP_4) | instskip(NEXT) | instid1(VALU_DEP_4)
	v_add_f64_e32 v[30:31], v[36:37], v[30:31]
	v_fma_f64 v[40:41], v[134:135], s[24:25], v[44:45]
	v_fma_f64 v[44:45], v[134:135], s[24:25], -v[44:45]
	s_delay_alu instid0(VALU_DEP_4)
	v_fma_f64 v[48:49], v[148:149], s[22:23], -v[46:47]
	v_fma_f64 v[36:37], v[148:149], s[22:23], v[46:47]
	v_mul_f64_e32 v[46:47], s[28:29], v[142:143]
	v_add_f64_e32 v[40:41], v[40:41], v[209:210]
	v_add_f64_e32 v[44:45], v[44:45], v[213:214]
	v_mul_f64_e32 v[209:210], s[38:39], v[179:180]
	v_add_f64_e32 v[32:33], v[48:49], v[32:33]
	v_mul_f64_e32 v[48:49], s[26:27], v[152:153]
	v_add_f64_e32 v[28:29], v[36:37], v[28:29]
	v_fma_f64 v[42:43], v[128:129], s[18:19], -v[46:47]
	v_fma_f64 v[46:47], v[128:129], s[18:19], v[46:47]
	s_delay_alu instid0(VALU_DEP_4) | instskip(SKIP_2) | instid1(VALU_DEP_3)
	v_fma_f64 v[50:51], v[150:151], s[22:23], v[48:49]
	v_fma_f64 v[36:37], v[150:151], s[22:23], -v[48:49]
	v_mul_f64_e32 v[48:49], s[28:29], v[140:141]
	v_add_f64_e32 v[34:35], v[50:51], v[34:35]
	v_mul_f64_e32 v[50:51], s[28:29], v[162:163]
	s_delay_alu instid0(VALU_DEP_4) | instskip(NEXT) | instid1(VALU_DEP_2)
	v_add_f64_e32 v[30:31], v[36:37], v[30:31]
	v_fma_f64 v[68:69], v[156:157], s[18:19], -v[50:51]
	v_fma_f64 v[36:37], v[156:157], s[18:19], v[50:51]
	v_mul_f64_e32 v[50:51], s[34:35], v[185:186]
	s_delay_alu instid0(VALU_DEP_3) | instskip(SKIP_1) | instid1(VALU_DEP_4)
	v_add_f64_e32 v[32:33], v[68:69], v[32:33]
	v_mul_f64_e32 v[68:69], s[28:29], v[160:161]
	v_add_f64_e32 v[28:29], v[36:37], v[28:29]
	s_delay_alu instid0(VALU_DEP_2) | instskip(SKIP_2) | instid1(VALU_DEP_3)
	v_fma_f64 v[70:71], v[158:159], s[18:19], v[68:69]
	v_fma_f64 v[36:37], v[158:159], s[18:19], -v[68:69]
	v_mul_f64_e32 v[68:69], s[52:53], v[154:155]
	v_add_f64_e32 v[34:35], v[70:71], v[34:35]
	v_mul_f64_e32 v[70:71], s[30:31], v[181:182]
	s_delay_alu instid0(VALU_DEP_4) | instskip(NEXT) | instid1(VALU_DEP_2)
	v_add_f64_e32 v[30:31], v[36:37], v[30:31]
	v_fma_f64 v[197:198], v[164:165], s[14:15], -v[70:71]
	v_fma_f64 v[36:37], v[164:165], s[14:15], v[70:71]
	v_mul_f64_e32 v[70:71], s[52:53], v[152:153]
	s_delay_alu instid0(VALU_DEP_3) | instskip(SKIP_1) | instid1(VALU_DEP_4)
	v_add_f64_e32 v[32:33], v[197:198], v[32:33]
	v_mul_f64_e32 v[197:198], s[30:31], v[179:180]
	v_add_f64_e32 v[28:29], v[36:37], v[28:29]
	s_delay_alu instid0(VALU_DEP_2) | instskip(SKIP_2) | instid1(VALU_DEP_3)
	v_fma_f64 v[199:200], v[166:167], s[14:15], v[197:198]
	v_fma_f64 v[36:37], v[166:167], s[14:15], -v[197:198]
	v_mul_f64_e32 v[197:198], s[48:49], v[162:163]
	v_add_f64_e32 v[34:35], v[199:200], v[34:35]
	v_mul_f64_e32 v[199:200], s[34:35], v[177:178]
	s_delay_alu instid0(VALU_DEP_4) | instskip(NEXT) | instid1(VALU_DEP_2)
	v_add_f64_e32 v[30:31], v[36:37], v[30:31]
	v_fma_f64 v[201:202], v[168:169], s[2:3], -v[199:200]
	v_fma_f64 v[36:37], v[168:169], s[2:3], v[199:200]
	v_mul_f64_e32 v[199:200], s[48:49], v[160:161]
	s_delay_alu instid0(VALU_DEP_3) | instskip(SKIP_1) | instid1(VALU_DEP_4)
	v_add_f64_e32 v[32:33], v[201:202], v[32:33]
	v_mul_f64_e32 v[201:202], s[34:35], v[175:176]
	v_add_f64_e32 v[28:29], v[36:37], v[28:29]
	v_mul_f64_e32 v[36:37], s[38:39], v[187:188]
	s_delay_alu instid0(VALU_DEP_3) | instskip(SKIP_2) | instid1(VALU_DEP_3)
	v_fma_f64 v[38:39], v[170:171], s[2:3], -v[201:202]
	v_fma_f64 v[203:204], v[170:171], s[2:3], v[201:202]
	v_mul_f64_e32 v[201:202], s[44:45], v[181:182]
	v_add_f64_e32 v[30:31], v[38:39], v[30:31]
	v_fma_f64 v[38:39], v[132:133], s[24:25], -v[36:37]
	v_fma_f64 v[36:37], v[132:133], s[24:25], v[36:37]
	v_add_f64_e32 v[34:35], v[203:204], v[34:35]
	v_mul_f64_e32 v[203:204], s[44:45], v[179:180]
	s_delay_alu instid0(VALU_DEP_4) | instskip(SKIP_3) | instid1(VALU_DEP_4)
	v_add_f64_e32 v[38:39], v[38:39], v[52:53]
	v_mul_f64_e32 v[52:53], s[34:35], v[183:184]
	v_add_f64_e32 v[36:37], v[36:37], v[211:212]
	v_mul_f64_e32 v[211:212], s[30:31], v[177:178]
	v_add_f64_e32 v[38:39], v[42:43], v[38:39]
	v_fma_f64 v[42:43], v[130:131], s[18:19], v[48:49]
	s_delay_alu instid0(VALU_DEP_4) | instskip(SKIP_1) | instid1(VALU_DEP_3)
	v_add_f64_e32 v[36:37], v[46:47], v[36:37]
	v_fma_f64 v[46:47], v[130:131], s[18:19], -v[48:49]
	v_add_f64_e32 v[40:41], v[42:43], v[40:41]
	v_fma_f64 v[42:43], v[136:137], s[2:3], -v[50:51]
	s_delay_alu instid0(VALU_DEP_3) | instskip(SKIP_1) | instid1(VALU_DEP_3)
	v_add_f64_e32 v[44:45], v[46:47], v[44:45]
	v_fma_f64 v[46:47], v[136:137], s[2:3], v[50:51]
	v_add_f64_e32 v[38:39], v[42:43], v[38:39]
	v_fma_f64 v[42:43], v[138:139], s[2:3], v[52:53]
	s_delay_alu instid0(VALU_DEP_3) | instskip(SKIP_2) | instid1(VALU_DEP_4)
	v_add_f64_e32 v[36:37], v[46:47], v[36:37]
	v_fma_f64 v[46:47], v[138:139], s[2:3], -v[52:53]
	v_mul_f64_e32 v[52:53], s[28:29], v[172:173]
	v_add_f64_e32 v[40:41], v[42:43], v[40:41]
	v_fma_f64 v[42:43], v[148:149], s[14:15], -v[68:69]
	s_delay_alu instid0(VALU_DEP_4)
	v_add_f64_e32 v[44:45], v[46:47], v[44:45]
	v_fma_f64 v[46:47], v[148:149], s[14:15], v[68:69]
	v_fma_f64 v[48:49], v[134:135], s[18:19], v[52:53]
	v_mul_f64_e32 v[68:69], s[58:59], v[140:141]
	v_fma_f64 v[52:53], v[134:135], s[18:19], -v[52:53]
	v_add_f64_e32 v[38:39], v[42:43], v[38:39]
	v_fma_f64 v[42:43], v[150:151], s[14:15], v[70:71]
	v_add_f64_e32 v[36:37], v[46:47], v[36:37]
	v_fma_f64 v[46:47], v[150:151], s[14:15], -v[70:71]
	v_add_f64_e32 v[48:49], v[48:49], v[215:216]
	v_mul_f64_e32 v[70:71], s[48:49], v[185:186]
	v_add_f64_e32 v[52:53], v[52:53], v[219:220]
	v_add_f64_e32 v[40:41], v[42:43], v[40:41]
	v_fma_f64 v[42:43], v[156:157], s[22:23], -v[197:198]
	v_add_f64_e32 v[44:45], v[46:47], v[44:45]
	v_fma_f64 v[46:47], v[156:157], s[22:23], v[197:198]
	v_mul_f64_e32 v[197:198], s[48:49], v[183:184]
	s_delay_alu instid0(VALU_DEP_4) | instskip(SKIP_1) | instid1(VALU_DEP_4)
	v_add_f64_e32 v[38:39], v[42:43], v[38:39]
	v_fma_f64 v[42:43], v[158:159], s[22:23], v[199:200]
	v_add_f64_e32 v[36:37], v[46:47], v[36:37]
	v_fma_f64 v[46:47], v[158:159], s[22:23], -v[199:200]
	v_mul_f64_e32 v[199:200], s[50:51], v[154:155]
	s_delay_alu instid0(VALU_DEP_4) | instskip(SKIP_1) | instid1(VALU_DEP_4)
	v_add_f64_e32 v[40:41], v[42:43], v[40:41]
	v_fma_f64 v[42:43], v[164:165], s[20:21], -v[201:202]
	v_add_f64_e32 v[44:45], v[46:47], v[44:45]
	v_fma_f64 v[46:47], v[164:165], s[20:21], v[201:202]
	v_mul_f64_e32 v[201:202], s[50:51], v[152:153]
	s_delay_alu instid0(VALU_DEP_4) | instskip(SKIP_1) | instid1(VALU_DEP_4)
	v_add_f64_e32 v[38:39], v[42:43], v[38:39]
	v_fma_f64 v[42:43], v[166:167], s[20:21], v[203:204]
	v_add_f64_e32 v[36:37], v[46:47], v[36:37]
	v_fma_f64 v[46:47], v[166:167], s[20:21], -v[203:204]
	v_mul_f64_e32 v[203:204], s[36:37], v[162:163]
	s_delay_alu instid0(VALU_DEP_4) | instskip(SKIP_1) | instid1(VALU_DEP_4)
	v_add_f64_e32 v[42:43], v[42:43], v[40:41]
	v_fma_f64 v[40:41], v[168:169], s[8:9], -v[205:206]
	v_add_f64_e32 v[44:45], v[46:47], v[44:45]
	v_fma_f64 v[46:47], v[168:169], s[8:9], v[205:206]
	v_mul_f64_e32 v[205:206], s[36:37], v[160:161]
	s_delay_alu instid0(VALU_DEP_4) | instskip(SKIP_1) | instid1(VALU_DEP_4)
	v_add_f64_e32 v[40:41], v[40:41], v[38:39]
	v_mul_f64_e32 v[38:39], s[46:47], v[175:176]
	v_add_f64_e32 v[36:37], v[46:47], v[36:37]
	s_delay_alu instid0(VALU_DEP_2) | instskip(SKIP_1) | instid1(VALU_DEP_2)
	v_fma_f64 v[207:208], v[170:171], s[8:9], v[38:39]
	v_fma_f64 v[38:39], v[170:171], s[8:9], -v[38:39]
	v_add_f64_e32 v[42:43], v[207:208], v[42:43]
	s_delay_alu instid0(VALU_DEP_2) | instskip(SKIP_2) | instid1(VALU_DEP_2)
	v_add_f64_e32 v[38:39], v[38:39], v[44:45]
	v_mul_f64_e32 v[44:45], s[28:29], v[187:188]
	v_mul_f64_e32 v[207:208], s[38:39], v[181:182]
	v_fma_f64 v[46:47], v[132:133], s[18:19], -v[44:45]
	v_fma_f64 v[44:45], v[132:133], s[18:19], v[44:45]
	s_delay_alu instid0(VALU_DEP_2) | instskip(SKIP_1) | instid1(VALU_DEP_3)
	v_add_f64_e32 v[46:47], v[46:47], v[54:55]
	v_mul_f64_e32 v[54:55], s[58:59], v[142:143]
	v_add_f64_e32 v[44:45], v[44:45], v[217:218]
	s_delay_alu instid0(VALU_DEP_2) | instskip(SKIP_1) | instid1(VALU_DEP_2)
	v_fma_f64 v[50:51], v[128:129], s[2:3], -v[54:55]
	v_fma_f64 v[54:55], v[128:129], s[2:3], v[54:55]
	v_add_f64_e32 v[46:47], v[50:51], v[46:47]
	v_fma_f64 v[50:51], v[130:131], s[2:3], v[68:69]
	s_delay_alu instid0(VALU_DEP_3) | instskip(SKIP_2) | instid1(VALU_DEP_4)
	v_add_f64_e32 v[44:45], v[54:55], v[44:45]
	v_fma_f64 v[54:55], v[130:131], s[2:3], -v[68:69]
	v_mul_f64_e32 v[68:69], s[34:35], v[187:188]
	v_add_f64_e32 v[48:49], v[50:51], v[48:49]
	v_fma_f64 v[50:51], v[136:137], s[22:23], -v[70:71]
	s_delay_alu instid0(VALU_DEP_4) | instskip(SKIP_2) | instid1(VALU_DEP_4)
	v_add_f64_e32 v[52:53], v[54:55], v[52:53]
	v_fma_f64 v[54:55], v[136:137], s[22:23], v[70:71]
	v_mul_f64_e32 v[70:71], s[34:35], v[172:173]
	v_add_f64_e32 v[46:47], v[50:51], v[46:47]
	v_fma_f64 v[50:51], v[138:139], s[22:23], v[197:198]
	s_delay_alu instid0(VALU_DEP_4) | instskip(SKIP_2) | instid1(VALU_DEP_4)
	v_add_f64_e32 v[44:45], v[54:55], v[44:45]
	v_fma_f64 v[54:55], v[138:139], s[22:23], -v[197:198]
	v_mul_f64_e32 v[197:198], s[48:49], v[142:143]
	v_add_f64_e32 v[48:49], v[50:51], v[48:49]
	v_fma_f64 v[50:51], v[148:149], s[16:17], -v[199:200]
	s_delay_alu instid0(VALU_DEP_4) | instskip(SKIP_2) | instid1(VALU_DEP_4)
	v_add_f64_e32 v[52:53], v[54:55], v[52:53]
	v_fma_f64 v[54:55], v[148:149], s[16:17], v[199:200]
	v_fma_f64 v[199:200], v[128:129], s[22:23], -v[197:198]
	v_add_f64_e32 v[46:47], v[50:51], v[46:47]
	v_fma_f64 v[50:51], v[150:151], s[16:17], v[201:202]
	s_delay_alu instid0(VALU_DEP_4) | instskip(SKIP_1) | instid1(VALU_DEP_3)
	v_add_f64_e32 v[44:45], v[54:55], v[44:45]
	v_fma_f64 v[54:55], v[150:151], s[16:17], -v[201:202]
	v_add_f64_e32 v[48:49], v[50:51], v[48:49]
	v_fma_f64 v[50:51], v[156:157], s[8:9], -v[203:204]
	s_delay_alu instid0(VALU_DEP_3) | instskip(SKIP_1) | instid1(VALU_DEP_3)
	v_add_f64_e32 v[52:53], v[54:55], v[52:53]
	v_fma_f64 v[54:55], v[156:157], s[8:9], v[203:204]
	v_add_f64_e32 v[46:47], v[50:51], v[46:47]
	v_fma_f64 v[50:51], v[158:159], s[8:9], v[205:206]
	s_delay_alu instid0(VALU_DEP_3) | instskip(SKIP_1) | instid1(VALU_DEP_3)
	v_add_f64_e32 v[44:45], v[54:55], v[44:45]
	v_fma_f64 v[54:55], v[158:159], s[8:9], -v[205:206]
	v_add_f64_e32 v[48:49], v[50:51], v[48:49]
	v_fma_f64 v[50:51], v[164:165], s[24:25], -v[207:208]
	s_delay_alu instid0(VALU_DEP_3) | instskip(SKIP_1) | instid1(VALU_DEP_3)
	v_add_f64_e32 v[52:53], v[54:55], v[52:53]
	v_fma_f64 v[54:55], v[164:165], s[24:25], v[207:208]
	v_add_f64_e32 v[46:47], v[50:51], v[46:47]
	v_fma_f64 v[50:51], v[166:167], s[24:25], v[209:210]
	s_delay_alu instid0(VALU_DEP_3) | instskip(SKIP_1) | instid1(VALU_DEP_3)
	v_add_f64_e32 v[44:45], v[54:55], v[44:45]
	v_fma_f64 v[54:55], v[166:167], s[24:25], -v[209:210]
	v_add_f64_e32 v[50:51], v[50:51], v[48:49]
	v_fma_f64 v[48:49], v[168:169], s[14:15], -v[211:212]
	s_delay_alu instid0(VALU_DEP_3) | instskip(SKIP_1) | instid1(VALU_DEP_3)
	v_add_f64_e32 v[52:53], v[54:55], v[52:53]
	v_fma_f64 v[54:55], v[168:169], s[14:15], v[211:212]
	v_add_f64_e32 v[48:49], v[48:49], v[46:47]
	v_mul_f64_e32 v[46:47], s[30:31], v[175:176]
	s_delay_alu instid0(VALU_DEP_3) | instskip(SKIP_1) | instid1(VALU_DEP_3)
	v_add_f64_e32 v[44:45], v[54:55], v[44:45]
	v_fma_f64 v[54:55], v[134:135], s[2:3], v[70:71]
	v_fma_f64 v[213:214], v[170:171], s[14:15], v[46:47]
	v_fma_f64 v[46:47], v[170:171], s[14:15], -v[46:47]
	s_delay_alu instid0(VALU_DEP_3) | instskip(NEXT) | instid1(VALU_DEP_3)
	v_add_f64_e32 v[54:55], v[54:55], v[223:224]
	v_add_f64_e32 v[50:51], v[213:214], v[50:51]
	s_delay_alu instid0(VALU_DEP_3) | instskip(SKIP_2) | instid1(VALU_DEP_2)
	v_add_f64_e32 v[46:47], v[46:47], v[52:53]
	v_fma_f64 v[52:53], v[132:133], s[2:3], -v[68:69]
	v_fma_f64 v[68:69], v[132:133], s[2:3], v[68:69]
	v_add_f64_e32 v[52:53], v[52:53], v[221:222]
	s_delay_alu instid0(VALU_DEP_2) | instskip(SKIP_1) | instid1(VALU_DEP_3)
	v_add_f64_e32 v[58:59], v[68:69], v[58:59]
	v_fma_f64 v[68:69], v[134:135], s[2:3], -v[70:71]
	v_add_f64_e32 v[52:53], v[199:200], v[52:53]
	v_mul_f64_e32 v[199:200], s[48:49], v[140:141]
	s_delay_alu instid0(VALU_DEP_3) | instskip(SKIP_1) | instid1(VALU_DEP_3)
	v_add_f64_e32 v[56:57], v[68:69], v[56:57]
	v_fma_f64 v[68:69], v[128:129], s[22:23], v[197:198]
	v_fma_f64 v[201:202], v[130:131], s[22:23], v[199:200]
	s_delay_alu instid0(VALU_DEP_2) | instskip(SKIP_1) | instid1(VALU_DEP_3)
	v_add_f64_e32 v[58:59], v[68:69], v[58:59]
	v_fma_f64 v[68:69], v[130:131], s[22:23], -v[199:200]
	v_add_f64_e32 v[54:55], v[201:202], v[54:55]
	v_mul_f64_e32 v[201:202], s[46:47], v[185:186]
	s_delay_alu instid0(VALU_DEP_3) | instskip(NEXT) | instid1(VALU_DEP_2)
	v_add_f64_e32 v[56:57], v[68:69], v[56:57]
	v_fma_f64 v[203:204], v[136:137], s[8:9], -v[201:202]
	v_fma_f64 v[68:69], v[136:137], s[8:9], v[201:202]
	s_delay_alu instid0(VALU_DEP_2) | instskip(SKIP_1) | instid1(VALU_DEP_3)
	v_add_f64_e32 v[52:53], v[203:204], v[52:53]
	v_mul_f64_e32 v[203:204], s[46:47], v[183:184]
	v_add_f64_e32 v[58:59], v[68:69], v[58:59]
	s_delay_alu instid0(VALU_DEP_2) | instskip(SKIP_1) | instid1(VALU_DEP_2)
	v_fma_f64 v[205:206], v[138:139], s[8:9], v[203:204]
	v_fma_f64 v[68:69], v[138:139], s[8:9], -v[203:204]
	v_add_f64_e32 v[54:55], v[205:206], v[54:55]
	v_mul_f64_e32 v[205:206], s[42:43], v[154:155]
	s_delay_alu instid0(VALU_DEP_3) | instskip(NEXT) | instid1(VALU_DEP_2)
	v_add_f64_e32 v[56:57], v[68:69], v[56:57]
	v_fma_f64 v[207:208], v[148:149], s[20:21], -v[205:206]
	v_fma_f64 v[68:69], v[148:149], s[20:21], v[205:206]
	s_delay_alu instid0(VALU_DEP_2) | instskip(SKIP_1) | instid1(VALU_DEP_3)
	v_add_f64_e32 v[52:53], v[207:208], v[52:53]
	v_mul_f64_e32 v[207:208], s[42:43], v[152:153]
	v_add_f64_e32 v[58:59], v[68:69], v[58:59]
	s_delay_alu instid0(VALU_DEP_2) | instskip(SKIP_1) | instid1(VALU_DEP_2)
	v_fma_f64 v[209:210], v[150:151], s[20:21], v[207:208]
	;; [unrolled: 13-line block ×4, first 2 shown]
	v_fma_f64 v[68:69], v[166:167], s[18:19], -v[215:216]
	v_add_f64_e32 v[54:55], v[217:218], v[54:55]
	v_mul_f64_e32 v[217:218], s[50:51], v[177:178]
	s_delay_alu instid0(VALU_DEP_3) | instskip(NEXT) | instid1(VALU_DEP_2)
	v_add_f64_e32 v[68:69], v[68:69], v[56:57]
	v_fma_f64 v[219:220], v[168:169], s[16:17], -v[217:218]
	v_fma_f64 v[56:57], v[168:169], s[16:17], v[217:218]
	s_delay_alu instid0(VALU_DEP_2) | instskip(SKIP_1) | instid1(VALU_DEP_3)
	v_add_f64_e32 v[52:53], v[219:220], v[52:53]
	v_mul_f64_e32 v[219:220], s[50:51], v[175:176]
	v_add_f64_e32 v[56:57], v[56:57], v[58:59]
	s_delay_alu instid0(VALU_DEP_2) | instskip(SKIP_2) | instid1(VALU_DEP_3)
	v_fma_f64 v[70:71], v[170:171], s[16:17], -v[219:220]
	v_fma_f64 v[221:222], v[170:171], s[16:17], v[219:220]
	v_mul_f64_e32 v[219:220], s[28:29], v[177:178]
	v_add_f64_e32 v[58:59], v[70:71], v[68:69]
	v_mul_f64_e32 v[68:69], s[52:53], v[187:188]
	s_delay_alu instid0(VALU_DEP_4) | instskip(SKIP_1) | instid1(VALU_DEP_3)
	v_add_f64_e32 v[54:55], v[221:222], v[54:55]
	v_mul_f64_e32 v[221:222], s[28:29], v[175:176]
	v_fma_f64 v[70:71], v[132:133], s[14:15], -v[68:69]
	v_fma_f64 v[68:69], v[132:133], s[14:15], v[68:69]
	s_delay_alu instid0(VALU_DEP_2) | instskip(SKIP_1) | instid1(VALU_DEP_3)
	v_add_f64_e32 v[66:67], v[70:71], v[66:67]
	v_mul_f64_e32 v[70:71], s[52:53], v[172:173]
	v_add_f64_e32 v[62:63], v[68:69], v[62:63]
	s_delay_alu instid0(VALU_DEP_2) | instskip(SKIP_2) | instid1(VALU_DEP_3)
	v_fma_f64 v[197:198], v[134:135], s[14:15], v[70:71]
	v_fma_f64 v[68:69], v[134:135], s[14:15], -v[70:71]
	v_fma_f64 v[70:71], v[170:171], s[18:19], -v[221:222]
	v_add_f64_e32 v[64:65], v[197:198], v[64:65]
	v_mul_f64_e32 v[197:198], s[50:51], v[142:143]
	s_delay_alu instid0(VALU_DEP_4) | instskip(NEXT) | instid1(VALU_DEP_2)
	v_add_f64_e32 v[60:61], v[68:69], v[60:61]
	v_fma_f64 v[199:200], v[128:129], s[16:17], -v[197:198]
	v_fma_f64 v[68:69], v[128:129], s[16:17], v[197:198]
	v_mul_f64_e32 v[197:198], s[48:49], v[187:188]
	s_delay_alu instid0(VALU_DEP_3) | instskip(SKIP_1) | instid1(VALU_DEP_4)
	v_add_f64_e32 v[66:67], v[199:200], v[66:67]
	v_mul_f64_e32 v[199:200], s[50:51], v[140:141]
	v_add_f64_e32 v[62:63], v[68:69], v[62:63]
	s_delay_alu instid0(VALU_DEP_2) | instskip(SKIP_1) | instid1(VALU_DEP_2)
	v_fma_f64 v[201:202], v[130:131], s[16:17], v[199:200]
	v_fma_f64 v[68:69], v[130:131], s[16:17], -v[199:200]
	v_add_f64_e32 v[64:65], v[201:202], v[64:65]
	v_mul_f64_e32 v[201:202], s[42:43], v[185:186]
	s_delay_alu instid0(VALU_DEP_3) | instskip(NEXT) | instid1(VALU_DEP_2)
	v_add_f64_e32 v[60:61], v[68:69], v[60:61]
	v_fma_f64 v[203:204], v[136:137], s[20:21], -v[201:202]
	v_fma_f64 v[68:69], v[136:137], s[20:21], v[201:202]
	s_delay_alu instid0(VALU_DEP_2) | instskip(SKIP_1) | instid1(VALU_DEP_3)
	v_add_f64_e32 v[66:67], v[203:204], v[66:67]
	v_mul_f64_e32 v[203:204], s[42:43], v[183:184]
	v_add_f64_e32 v[62:63], v[68:69], v[62:63]
	s_delay_alu instid0(VALU_DEP_2) | instskip(SKIP_1) | instid1(VALU_DEP_2)
	v_fma_f64 v[205:206], v[138:139], s[20:21], v[203:204]
	v_fma_f64 v[68:69], v[138:139], s[20:21], -v[203:204]
	v_add_f64_e32 v[64:65], v[205:206], v[64:65]
	v_mul_f64_e32 v[205:206], s[34:35], v[154:155]
	s_delay_alu instid0(VALU_DEP_3) | instskip(NEXT) | instid1(VALU_DEP_2)
	v_add_f64_e32 v[60:61], v[68:69], v[60:61]
	v_fma_f64 v[207:208], v[148:149], s[2:3], -v[205:206]
	v_fma_f64 v[68:69], v[148:149], s[2:3], v[205:206]
	s_delay_alu instid0(VALU_DEP_2) | instskip(SKIP_1) | instid1(VALU_DEP_3)
	;; [unrolled: 13-line block ×4, first 2 shown]
	v_add_f64_e32 v[66:67], v[215:216], v[66:67]
	v_mul_f64_e32 v[215:216], s[36:37], v[179:180]
	v_add_f64_e32 v[62:63], v[68:69], v[62:63]
	s_delay_alu instid0(VALU_DEP_2) | instskip(SKIP_1) | instid1(VALU_DEP_2)
	v_fma_f64 v[68:69], v[166:167], s[8:9], -v[215:216]
	v_fma_f64 v[217:218], v[166:167], s[8:9], v[215:216]
	v_add_f64_e32 v[68:69], v[68:69], v[60:61]
	v_fma_f64 v[60:61], v[168:169], s[18:19], v[219:220]
	s_delay_alu instid0(VALU_DEP_3) | instskip(SKIP_1) | instid1(VALU_DEP_3)
	v_add_f64_e32 v[217:218], v[217:218], v[64:65]
	v_fma_f64 v[64:65], v[168:169], s[18:19], -v[219:220]
	v_add_f64_e32 v[60:61], v[60:61], v[62:63]
	v_add_f64_e32 v[62:63], v[70:71], v[68:69]
	v_fma_f64 v[68:69], v[132:133], s[22:23], -v[197:198]
	v_fma_f64 v[197:198], v[132:133], s[22:23], v[197:198]
	v_add_f64_e32 v[64:65], v[64:65], v[66:67]
	v_fma_f64 v[66:67], v[170:171], s[18:19], v[221:222]
	s_delay_alu instid0(VALU_DEP_4) | instskip(SKIP_2) | instid1(VALU_DEP_4)
	v_add_f64_e32 v[68:69], v[68:69], v[195:196]
	v_mul_f64_e32 v[195:196], s[48:49], v[172:173]
	v_add_f64_e32 v[98:99], v[197:198], v[98:99]
	v_add_f64_e32 v[66:67], v[66:67], v[217:218]
	s_delay_alu instid0(VALU_DEP_3) | instskip(SKIP_1) | instid1(VALU_DEP_2)
	v_fma_f64 v[70:71], v[134:135], s[22:23], v[195:196]
	v_fma_f64 v[195:196], v[134:135], s[22:23], -v[195:196]
	v_add_f64_e32 v[70:71], v[70:71], v[193:194]
	v_mul_f64_e32 v[193:194], s[36:37], v[142:143]
	s_delay_alu instid0(VALU_DEP_3) | instskip(NEXT) | instid1(VALU_DEP_2)
	v_add_f64_e32 v[96:97], v[195:196], v[96:97]
	v_fma_f64 v[199:200], v[128:129], s[8:9], -v[193:194]
	v_fma_f64 v[193:194], v[128:129], s[8:9], v[193:194]
	s_delay_alu instid0(VALU_DEP_2) | instskip(SKIP_1) | instid1(VALU_DEP_3)
	v_add_f64_e32 v[68:69], v[199:200], v[68:69]
	v_mul_f64_e32 v[199:200], s[36:37], v[140:141]
	v_add_f64_e32 v[98:99], v[193:194], v[98:99]
	s_delay_alu instid0(VALU_DEP_2) | instskip(SKIP_1) | instid1(VALU_DEP_2)
	v_fma_f64 v[201:202], v[130:131], s[8:9], v[199:200]
	v_fma_f64 v[193:194], v[130:131], s[8:9], -v[199:200]
	v_add_f64_e32 v[70:71], v[201:202], v[70:71]
	v_mul_f64_e32 v[201:202], s[30:31], v[185:186]
	s_delay_alu instid0(VALU_DEP_3) | instskip(NEXT) | instid1(VALU_DEP_2)
	v_add_f64_e32 v[96:97], v[193:194], v[96:97]
	v_fma_f64 v[203:204], v[136:137], s[14:15], -v[201:202]
	v_fma_f64 v[193:194], v[136:137], s[14:15], v[201:202]
	s_delay_alu instid0(VALU_DEP_2) | instskip(SKIP_1) | instid1(VALU_DEP_3)
	v_add_f64_e32 v[68:69], v[203:204], v[68:69]
	v_mul_f64_e32 v[203:204], s[30:31], v[183:184]
	v_add_f64_e32 v[98:99], v[193:194], v[98:99]
	s_delay_alu instid0(VALU_DEP_2) | instskip(SKIP_1) | instid1(VALU_DEP_2)
	;; [unrolled: 13-line block ×5, first 2 shown]
	v_fma_f64 v[217:218], v[166:167], s[2:3], v[215:216]
	v_fma_f64 v[193:194], v[166:167], s[2:3], -v[215:216]
	v_add_f64_e32 v[70:71], v[217:218], v[70:71]
	v_mul_f64_e32 v[217:218], s[44:45], v[177:178]
	s_delay_alu instid0(VALU_DEP_3) | instskip(NEXT) | instid1(VALU_DEP_2)
	v_add_f64_e32 v[193:194], v[193:194], v[96:97]
	v_fma_f64 v[219:220], v[168:169], s[20:21], -v[217:218]
	v_fma_f64 v[96:97], v[168:169], s[20:21], v[217:218]
	s_delay_alu instid0(VALU_DEP_2) | instskip(SKIP_1) | instid1(VALU_DEP_3)
	v_add_f64_e32 v[68:69], v[219:220], v[68:69]
	v_mul_f64_e32 v[219:220], s[44:45], v[175:176]
	v_add_f64_e32 v[96:97], v[96:97], v[98:99]
	s_delay_alu instid0(VALU_DEP_2) | instskip(SKIP_3) | instid1(VALU_DEP_4)
	v_fma_f64 v[195:196], v[170:171], s[20:21], -v[219:220]
	v_fma_f64 v[221:222], v[170:171], s[20:21], v[219:220]
	v_mul_f64_e32 v[219:220], s[26:27], v[177:178]
	v_mul_f64_e32 v[177:178], s[56:57], v[177:178]
	v_add_f64_e32 v[98:99], v[195:196], v[193:194]
	v_mul_f64_e32 v[193:194], s[44:45], v[187:188]
	v_add_f64_e32 v[70:71], v[221:222], v[70:71]
	v_mul_f64_e32 v[221:222], s[26:27], v[175:176]
	v_mul_f64_e32 v[187:188], s[46:47], v[187:188]
	;; [unrolled: 1-line block ×3, first 2 shown]
	v_fma_f64 v[195:196], v[132:133], s[20:21], -v[193:194]
	v_fma_f64 v[193:194], v[132:133], s[20:21], v[193:194]
	s_delay_alu instid0(VALU_DEP_2) | instskip(SKIP_1) | instid1(VALU_DEP_3)
	v_add_f64_e32 v[102:103], v[195:196], v[102:103]
	v_mul_f64_e32 v[195:196], s[44:45], v[172:173]
	v_add_f64_e32 v[106:107], v[193:194], v[106:107]
	v_mul_f64_e32 v[172:173], s[46:47], v[172:173]
	s_delay_alu instid0(VALU_DEP_3) | instskip(SKIP_2) | instid1(VALU_DEP_3)
	v_fma_f64 v[197:198], v[134:135], s[20:21], v[195:196]
	v_fma_f64 v[193:194], v[134:135], s[20:21], -v[195:196]
	v_fma_f64 v[195:196], v[170:171], s[22:23], -v[221:222]
	v_add_f64_e32 v[100:101], v[197:198], v[100:101]
	v_mul_f64_e32 v[197:198], s[38:39], v[142:143]
	s_delay_alu instid0(VALU_DEP_4) | instskip(SKIP_1) | instid1(VALU_DEP_3)
	v_add_f64_e32 v[104:105], v[193:194], v[104:105]
	v_mul_f64_e32 v[142:143], s[30:31], v[142:143]
	v_fma_f64 v[199:200], v[128:129], s[24:25], -v[197:198]
	v_fma_f64 v[193:194], v[128:129], s[24:25], v[197:198]
	v_add_f64_e32 v[197:198], v[78:79], v[14:15]
	s_delay_alu instid0(VALU_DEP_3) | instskip(SKIP_1) | instid1(VALU_DEP_4)
	v_add_f64_e32 v[102:103], v[199:200], v[102:103]
	v_mul_f64_e32 v[199:200], s[38:39], v[140:141]
	v_add_f64_e32 v[106:107], v[193:194], v[106:107]
	v_mul_f64_e32 v[140:141], s[30:31], v[140:141]
	s_delay_alu instid0(VALU_DEP_3) | instskip(SKIP_1) | instid1(VALU_DEP_2)
	v_fma_f64 v[201:202], v[130:131], s[24:25], v[199:200]
	v_fma_f64 v[193:194], v[130:131], s[24:25], -v[199:200]
	v_add_f64_e32 v[100:101], v[201:202], v[100:101]
	v_mul_f64_e32 v[201:202], s[54:55], v[185:186]
	s_delay_alu instid0(VALU_DEP_3) | instskip(SKIP_1) | instid1(VALU_DEP_3)
	v_add_f64_e32 v[104:105], v[193:194], v[104:105]
	v_mul_f64_e32 v[185:186], s[50:51], v[185:186]
	v_fma_f64 v[203:204], v[136:137], s[18:19], -v[201:202]
	v_fma_f64 v[193:194], v[136:137], s[18:19], v[201:202]
	v_add_f64_e32 v[201:202], v[86:87], v[114:115]
	s_delay_alu instid0(VALU_DEP_3) | instskip(SKIP_1) | instid1(VALU_DEP_4)
	v_add_f64_e32 v[102:103], v[203:204], v[102:103]
	v_mul_f64_e32 v[203:204], s[54:55], v[183:184]
	v_add_f64_e32 v[106:107], v[193:194], v[106:107]
	v_mul_f64_e32 v[183:184], s[50:51], v[183:184]
	s_delay_alu instid0(VALU_DEP_3) | instskip(SKIP_1) | instid1(VALU_DEP_2)
	v_fma_f64 v[205:206], v[138:139], s[18:19], v[203:204]
	v_fma_f64 v[193:194], v[138:139], s[18:19], -v[203:204]
	v_add_f64_e32 v[100:101], v[205:206], v[100:101]
	v_mul_f64_e32 v[205:206], s[36:37], v[154:155]
	s_delay_alu instid0(VALU_DEP_3) | instskip(SKIP_1) | instid1(VALU_DEP_3)
	;; [unrolled: 16-line block ×3, first 2 shown]
	v_add_f64_e32 v[104:105], v[193:194], v[104:105]
	v_mul_f64_e32 v[162:163], s[44:45], v[162:163]
	v_fma_f64 v[211:212], v[156:157], s[2:3], -v[209:210]
	v_fma_f64 v[193:194], v[156:157], s[2:3], v[209:210]
	s_delay_alu instid0(VALU_DEP_2) | instskip(SKIP_1) | instid1(VALU_DEP_3)
	v_add_f64_e32 v[102:103], v[211:212], v[102:103]
	v_mul_f64_e32 v[211:212], s[34:35], v[160:161]
	v_add_f64_e32 v[106:107], v[193:194], v[106:107]
	v_mul_f64_e32 v[160:161], s[44:45], v[160:161]
	s_delay_alu instid0(VALU_DEP_3) | instskip(SKIP_1) | instid1(VALU_DEP_2)
	v_fma_f64 v[213:214], v[158:159], s[2:3], v[211:212]
	v_fma_f64 v[193:194], v[158:159], s[2:3], -v[211:212]
	v_add_f64_e32 v[100:101], v[213:214], v[100:101]
	v_mul_f64_e32 v[213:214], s[50:51], v[181:182]
	s_delay_alu instid0(VALU_DEP_3) | instskip(SKIP_1) | instid1(VALU_DEP_3)
	v_add_f64_e32 v[104:105], v[193:194], v[104:105]
	v_mul_f64_e32 v[181:182], s[26:27], v[181:182]
	v_fma_f64 v[215:216], v[164:165], s[16:17], -v[213:214]
	v_fma_f64 v[193:194], v[164:165], s[16:17], v[213:214]
	s_delay_alu instid0(VALU_DEP_2) | instskip(SKIP_1) | instid1(VALU_DEP_3)
	v_add_f64_e32 v[102:103], v[215:216], v[102:103]
	v_mul_f64_e32 v[215:216], s[50:51], v[179:180]
	v_add_f64_e32 v[106:107], v[193:194], v[106:107]
	v_mul_f64_e32 v[179:180], s[26:27], v[179:180]
	s_delay_alu instid0(VALU_DEP_3) | instskip(SKIP_1) | instid1(VALU_DEP_2)
	v_fma_f64 v[193:194], v[166:167], s[16:17], -v[215:216]
	v_fma_f64 v[217:218], v[166:167], s[16:17], v[215:216]
	v_add_f64_e32 v[193:194], v[193:194], v[104:105]
	v_fma_f64 v[104:105], v[168:169], s[22:23], v[219:220]
	s_delay_alu instid0(VALU_DEP_3) | instskip(SKIP_1) | instid1(VALU_DEP_3)
	v_add_f64_e32 v[217:218], v[217:218], v[100:101]
	v_fma_f64 v[100:101], v[168:169], s[22:23], -v[219:220]
	v_add_f64_e32 v[104:105], v[104:105], v[106:107]
	v_add_f64_e32 v[106:107], v[195:196], v[193:194]
	v_fma_f64 v[193:194], v[132:133], s[8:9], -v[187:188]
	v_fma_f64 v[132:133], v[132:133], s[8:9], v[187:188]
	v_mul_f64_e32 v[187:188], s[26:27], v[230:231]
	v_add_f64_e32 v[100:101], v[100:101], v[102:103]
	v_fma_f64 v[102:103], v[170:171], s[22:23], v[221:222]
	v_mul_f64_e32 v[221:222], s[28:29], v[234:235]
	v_add_f64_e32 v[126:127], v[193:194], v[126:127]
	v_fma_f64 v[193:194], v[134:135], s[8:9], v[172:173]
	v_fma_f64 v[134:135], v[134:135], s[8:9], -v[172:173]
	v_add_f64_e32 v[132:133], v[132:133], v[189:190]
	v_add_f64_e32 v[189:190], v[80:81], v[16:17]
	;; [unrolled: 1-line block ×3, first 2 shown]
	v_mul_f64_e32 v[217:218], s[28:29], v[230:231]
	v_add_f64_e32 v[124:125], v[193:194], v[124:125]
	v_fma_f64 v[193:194], v[128:129], s[14:15], -v[142:143]
	v_fma_f64 v[128:129], v[128:129], s[14:15], v[142:143]
	v_add_f64_e32 v[134:135], v[134:135], v[191:192]
	v_mul_f64_e32 v[191:192], s[26:27], v[234:235]
	s_delay_alu instid0(VALU_DEP_4) | instskip(SKIP_4) | instid1(VALU_DEP_4)
	v_add_f64_e32 v[126:127], v[193:194], v[126:127]
	v_fma_f64 v[193:194], v[130:131], s[14:15], v[140:141]
	v_fma_f64 v[130:131], v[130:131], s[14:15], -v[140:141]
	v_add_f64_e32 v[128:129], v[128:129], v[132:133]
	v_fma_f64 v[132:133], v[148:149], s[18:19], v[154:155]
	v_add_f64_e32 v[124:125], v[193:194], v[124:125]
	v_fma_f64 v[193:194], v[136:137], s[16:17], -v[185:186]
	v_fma_f64 v[136:137], v[136:137], s[16:17], v[185:186]
	v_add_f64_e32 v[130:131], v[130:131], v[134:135]
	v_fma_f64 v[134:135], v[150:151], s[18:19], -v[152:153]
	v_add_f64_e32 v[185:186], v[90:91], v[146:147]
	v_add_f64_e32 v[126:127], v[193:194], v[126:127]
	v_fma_f64 v[193:194], v[138:139], s[16:17], v[183:184]
	v_fma_f64 v[138:139], v[138:139], s[16:17], -v[183:184]
	v_add_f64_e32 v[128:129], v[136:137], v[128:129]
	v_add_f64_e32 v[136:137], v[22:23], v[2:3]
	s_delay_alu instid0(VALU_DEP_4) | instskip(NEXT) | instid1(VALU_DEP_4)
	v_add_f64_e32 v[124:125], v[193:194], v[124:125]
	v_add_f64_e32 v[130:131], v[138:139], v[130:131]
	v_fma_f64 v[193:194], v[148:149], s[18:19], -v[154:155]
	v_add_f64_e32 v[128:129], v[132:133], v[128:129]
	v_fma_f64 v[132:133], v[156:157], s[20:21], v[162:163]
	v_mul_f64_e32 v[138:139], s[40:41], v[236:237]
	v_add_f64_e32 v[154:155], v[92:93], v[120:121]
	v_add_f64_e32 v[130:131], v[134:135], v[130:131]
	v_fma_f64 v[134:135], v[158:159], s[20:21], -v[160:161]
	v_add_f64_e32 v[126:127], v[193:194], v[126:127]
	v_fma_f64 v[193:194], v[150:151], s[18:19], v[152:153]
	v_add_f64_e32 v[128:129], v[132:133], v[128:129]
	v_fma_f64 v[132:133], v[164:165], s[22:23], v[181:182]
	v_add_f64_e64 v[152:153], v[110:111], -v[118:119]
	scratch_store_b64 off, v[138:139], off offset:536 ; 8-byte Folded Spill
	v_add_f64_e32 v[130:131], v[134:135], v[130:131]
	v_fma_f64 v[134:135], v[166:167], s[22:23], -v[179:180]
	v_add_f64_e32 v[124:125], v[193:194], v[124:125]
	v_fma_f64 v[193:194], v[156:157], s[20:21], -v[162:163]
	v_add_f64_e32 v[128:129], v[132:133], v[128:129]
	v_fma_f64 v[132:133], v[168:169], s[24:25], v[177:178]
	v_add_f64_e32 v[162:163], v[72:73], v[4:5]
	v_mul_f64_e32 v[150:151], s[34:35], v[152:153]
	v_add_f64_e32 v[130:131], v[134:135], v[130:131]
	v_fma_f64 v[134:135], v[170:171], s[24:25], -v[175:176]
	v_add_f64_e32 v[126:127], v[193:194], v[126:127]
	v_fma_f64 v[193:194], v[158:159], s[20:21], v[160:161]
	v_add_f64_e32 v[128:129], v[132:133], v[128:129]
	v_mul_f64_e32 v[132:133], s[36:37], v[230:231]
	scratch_store_b64 off, v[150:151], off offset:12 ; 8-byte Folded Spill
	v_add_f64_e32 v[130:131], v[134:135], v[130:131]
	v_mul_f64_e32 v[134:135], s[40:41], v[232:233]
	v_add_f64_e32 v[124:125], v[193:194], v[124:125]
	v_fma_f64 v[193:194], v[164:165], s[22:23], -v[181:182]
	v_add_f64_e32 v[181:182], v[76:77], v[12:13]
	v_add_f64_e32 v[164:165], v[94:95], v[122:123]
	s_clause 0x1
	scratch_store_b64 off, v[134:135], off offset:488
	scratch_store_b64 off, v[132:133], off offset:976
	v_fma_f64 v[132:133], v[249:250], s[8:9], v[132:133]
	v_add_f64_e32 v[126:127], v[193:194], v[126:127]
	v_fma_f64 v[193:194], v[166:167], s[22:23], v[179:180]
	v_fma_f64 v[134:135], v[162:163], s[16:17], v[134:135]
	s_delay_alu instid0(VALU_DEP_4) | instskip(NEXT) | instid1(VALU_DEP_3)
	v_add_f64_e32 v[132:133], v[8:9], v[132:133]
	v_add_f64_e32 v[193:194], v[193:194], v[124:125]
	v_fma_f64 v[124:125], v[168:169], s[24:25], -v[177:178]
	v_add_f64_e32 v[168:169], v[88:89], v[144:145]
	s_delay_alu instid0(VALU_DEP_4) | instskip(SKIP_1) | instid1(VALU_DEP_4)
	v_add_f64_e32 v[132:133], v[134:135], v[132:133]
	v_mul_f64_e32 v[134:135], s[36:37], v[234:235]
	v_add_f64_e32 v[124:125], v[124:125], v[126:127]
	v_fma_f64 v[126:127], v[170:171], s[24:25], v[175:176]
	v_add_f64_e32 v[175:176], v[74:75], v[6:7]
	scratch_store_b64 off, v[134:135], off offset:1008 ; 8-byte Folded Spill
	v_fma_f64 v[134:135], v[136:137], s[8:9], -v[134:135]
	v_add_f64_e32 v[126:127], v[126:127], v[193:194]
	v_fma_f64 v[138:139], v[175:176], s[16:17], -v[138:139]
	v_add_f64_e32 v[193:194], v[84:85], v[112:113]
	s_delay_alu instid0(VALU_DEP_4) | instskip(NEXT) | instid1(VALU_DEP_1)
	v_add_f64_e32 v[134:135], v[10:11], v[134:135]
	v_add_f64_e32 v[134:135], v[138:139], v[134:135]
	v_mul_f64_e32 v[138:139], s[42:43], v[238:239]
	scratch_store_b64 off, v[138:139], off offset:552 ; 8-byte Folded Spill
	v_fma_f64 v[138:139], v[181:182], s[20:21], v[138:139]
	s_delay_alu instid0(VALU_DEP_1) | instskip(SKIP_3) | instid1(VALU_DEP_1)
	v_add_f64_e32 v[132:133], v[138:139], v[132:133]
	v_mul_f64_e32 v[138:139], s[42:43], v[240:241]
	scratch_store_b64 off, v[138:139], off offset:632 ; 8-byte Folded Spill
	v_fma_f64 v[138:139], v[197:198], s[20:21], -v[138:139]
	v_add_f64_e32 v[134:135], v[138:139], v[134:135]
	v_mul_f64_e32 v[138:139], s[38:39], v[242:243]
	scratch_store_b64 off, v[138:139], off offset:600 ; 8-byte Folded Spill
	v_fma_f64 v[138:139], v[189:190], s[24:25], v[138:139]
	s_delay_alu instid0(VALU_DEP_1) | instskip(SKIP_3) | instid1(VALU_DEP_1)
	v_add_f64_e32 v[132:133], v[138:139], v[132:133]
	v_mul_f64_e32 v[138:139], s[38:39], v[244:245]
	scratch_store_b64 off, v[138:139], off offset:664 ; 8-byte Folded Spill
	v_fma_f64 v[138:139], v[205:206], s[24:25], -v[138:139]
	;; [unrolled: 9-line block ×3, first 2 shown]
	v_add_f64_e32 v[134:135], v[138:139], v[134:135]
	v_mul_f64_e32 v[138:139], s[28:29], v[253:254]
	scratch_store_b64 off, v[138:139], off offset:520 ; 8-byte Folded Spill
	v_fma_f64 v[138:139], v[168:169], s[18:19], v[138:139]
	s_delay_alu instid0(VALU_DEP_1) | instskip(SKIP_1) | instid1(VALU_DEP_1)
	v_add_f64_e32 v[132:133], v[138:139], v[132:133]
	v_add_f64_e64 v[138:139], v[88:89], -v[144:145]
	v_mul_f64_e32 v[140:141], s[28:29], v[138:139]
	scratch_store_b64 off, v[140:141], off offset:584 ; 8-byte Folded Spill
	v_fma_f64 v[140:141], v[185:186], s[18:19], -v[140:141]
	s_delay_alu instid0(VALU_DEP_1) | instskip(SKIP_1) | instid1(VALU_DEP_1)
	v_add_f64_e32 v[134:135], v[140:141], v[134:135]
	v_add_f64_e64 v[140:141], v[94:95], -v[122:123]
	v_mul_f64_e32 v[142:143], s[30:31], v[140:141]
	scratch_store_b64 off, v[142:143], off offset:456 ; 8-byte Folded Spill
	v_fma_f64 v[142:143], v[154:155], s[14:15], v[142:143]
	s_delay_alu instid0(VALU_DEP_1) | instskip(SKIP_1) | instid1(VALU_DEP_1)
	v_add_f64_e32 v[132:133], v[142:143], v[132:133]
	v_add_f64_e64 v[142:143], v[92:93], -v[120:121]
	v_mul_f64_e32 v[148:149], s[30:31], v[142:143]
	scratch_store_b64 off, v[148:149], off offset:504 ; 8-byte Folded Spill
	v_fma_f64 v[148:149], v[164:165], s[14:15], -v[148:149]
	s_delay_alu instid0(VALU_DEP_1) | instskip(SKIP_1) | instid1(VALU_DEP_1)
	v_add_f64_e32 v[148:149], v[148:149], v[134:135]
	v_add_f64_e32 v[134:135], v[108:109], v[116:117]
	v_fma_f64 v[150:151], v[134:135], s[2:3], v[150:151]
	s_delay_alu instid0(VALU_DEP_1) | instskip(SKIP_2) | instid1(VALU_DEP_2)
	v_add_f64_e32 v[158:159], v[150:151], v[132:133]
	v_add_f64_e64 v[132:133], v[108:109], -v[116:117]
	v_add_f64_e32 v[150:151], v[110:111], v[118:119]
	v_mul_f64_e32 v[156:157], s[34:35], v[132:133]
	scratch_store_b64 off, v[156:157], off offset:168 ; 8-byte Folded Spill
	v_fma_f64 v[156:157], v[150:151], s[2:3], -v[156:157]
	s_delay_alu instid0(VALU_DEP_1)
	v_add_f64_e32 v[160:161], v[156:157], v[148:149]
	v_mul_f64_e32 v[148:149], s[40:41], v[230:231]
	v_mul_f64_e32 v[156:157], s[38:39], v[232:233]
	scratch_store_b128 off, v[158:161], off offset:24 ; 16-byte Folded Spill
	v_mul_f64_e32 v[158:159], s[38:39], v[236:237]
	s_clause 0x1
	scratch_store_b64 off, v[156:157], off offset:752
	scratch_store_b64 off, v[148:149], off offset:1276
	v_fma_f64 v[148:149], v[249:250], s[16:17], v[148:149]
	v_fma_f64 v[156:157], v[162:163], s[24:25], v[156:157]
	scratch_store_b64 off, v[158:159], off offset:832 ; 8-byte Folded Spill
	v_fma_f64 v[158:159], v[175:176], s[24:25], -v[158:159]
	v_add_f64_e32 v[148:149], v[8:9], v[148:149]
	s_delay_alu instid0(VALU_DEP_1) | instskip(SKIP_3) | instid1(VALU_DEP_1)
	v_add_f64_e32 v[148:149], v[156:157], v[148:149]
	v_mul_f64_e32 v[156:157], s[40:41], v[234:235]
	scratch_store_b64 off, v[156:157], off offset:1324 ; 8-byte Folded Spill
	v_fma_f64 v[156:157], v[136:137], s[16:17], -v[156:157]
	v_add_f64_e32 v[156:157], v[10:11], v[156:157]
	s_delay_alu instid0(VALU_DEP_1) | instskip(SKIP_3) | instid1(VALU_DEP_1)
	v_add_f64_e32 v[156:157], v[158:159], v[156:157]
	v_mul_f64_e32 v[158:159], s[28:29], v[238:239]
	scratch_store_b64 off, v[158:159], off offset:816 ; 8-byte Folded Spill
	v_fma_f64 v[158:159], v[181:182], s[18:19], v[158:159]
	v_add_f64_e32 v[148:149], v[158:159], v[148:149]
	v_mul_f64_e32 v[158:159], s[28:29], v[240:241]
	scratch_store_b64 off, v[158:159], off offset:880 ; 8-byte Folded Spill
	v_fma_f64 v[158:159], v[197:198], s[18:19], -v[158:159]
	s_delay_alu instid0(VALU_DEP_1) | instskip(SKIP_3) | instid1(VALU_DEP_1)
	v_add_f64_e32 v[156:157], v[158:159], v[156:157]
	v_mul_f64_e32 v[158:159], s[34:35], v[242:243]
	scratch_store_b64 off, v[158:159], off offset:864 ; 8-byte Folded Spill
	v_fma_f64 v[158:159], v[189:190], s[2:3], v[158:159]
	v_add_f64_e32 v[148:149], v[158:159], v[148:149]
	v_mul_f64_e32 v[158:159], s[34:35], v[244:245]
	scratch_store_b64 off, v[158:159], off offset:912 ; 8-byte Folded Spill
	v_fma_f64 v[158:159], v[205:206], s[2:3], -v[158:159]
	;; [unrolled: 9-line block ×6, first 2 shown]
	s_delay_alu instid0(VALU_DEP_1)
	v_add_f64_e32 v[160:161], v[148:149], v[156:157]
	v_mul_f64_e32 v[148:149], s[42:43], v[230:231]
	v_mul_f64_e32 v[156:157], s[28:29], v[232:233]
	scratch_store_b128 off, v[158:161], off offset:40 ; 16-byte Folded Spill
	v_mul_f64_e32 v[158:159], s[28:29], v[236:237]
	s_clause 0x1
	scratch_store_b64 off, v[156:157], off offset:992
	scratch_store_b64 off, v[148:149], off offset:1380
	v_fma_f64 v[148:149], v[249:250], s[20:21], v[148:149]
	v_fma_f64 v[156:157], v[162:163], s[18:19], v[156:157]
	scratch_store_b64 off, v[158:159], off offset:1060 ; 8-byte Folded Spill
	v_fma_f64 v[158:159], v[175:176], s[18:19], -v[158:159]
	v_add_f64_e32 v[148:149], v[8:9], v[148:149]
	s_delay_alu instid0(VALU_DEP_1) | instskip(SKIP_3) | instid1(VALU_DEP_1)
	v_add_f64_e32 v[148:149], v[156:157], v[148:149]
	v_mul_f64_e32 v[156:157], s[42:43], v[234:235]
	scratch_store_b64 off, v[156:157], off offset:1432 ; 8-byte Folded Spill
	v_fma_f64 v[156:157], v[136:137], s[20:21], -v[156:157]
	v_add_f64_e32 v[156:157], v[10:11], v[156:157]
	s_delay_alu instid0(VALU_DEP_1) | instskip(SKIP_3) | instid1(VALU_DEP_1)
	v_add_f64_e32 v[156:157], v[158:159], v[156:157]
	v_mul_f64_e32 v[158:159], s[58:59], v[238:239]
	scratch_store_b64 off, v[158:159], off offset:1040 ; 8-byte Folded Spill
	v_fma_f64 v[158:159], v[181:182], s[2:3], v[158:159]
	v_add_f64_e32 v[148:149], v[158:159], v[148:149]
	v_mul_f64_e32 v[158:159], s[58:59], v[240:241]
	scratch_store_b64 off, v[158:159], off offset:1108 ; 8-byte Folded Spill
	v_fma_f64 v[158:159], v[197:198], s[2:3], -v[158:159]
	s_delay_alu instid0(VALU_DEP_1) | instskip(SKIP_3) | instid1(VALU_DEP_1)
	v_add_f64_e32 v[156:157], v[158:159], v[156:157]
	v_mul_f64_e32 v[158:159], s[48:49], v[242:243]
	scratch_store_b64 off, v[158:159], off offset:1092 ; 8-byte Folded Spill
	v_fma_f64 v[158:159], v[189:190], s[22:23], v[158:159]
	v_add_f64_e32 v[148:149], v[158:159], v[148:149]
	v_mul_f64_e32 v[158:159], s[48:49], v[244:245]
	scratch_store_b64 off, v[158:159], off offset:1140 ; 8-byte Folded Spill
	v_fma_f64 v[158:159], v[205:206], s[22:23], -v[158:159]
	;; [unrolled: 9-line block ×6, first 2 shown]
	s_delay_alu instid0(VALU_DEP_1)
	v_add_f64_e32 v[160:161], v[148:149], v[156:157]
	v_mul_f64_e32 v[148:149], s[38:39], v[230:231]
	scratch_store_b64 off, v[148:149], off offset:1504 ; 8-byte Folded Spill
	v_fma_f64 v[156:157], v[249:250], s[24:25], v[148:149]
	v_mul_f64_e32 v[148:149], s[34:35], v[232:233]
	scratch_store_b128 off, v[158:161], off offset:56 ; 16-byte Folded Spill
	v_add_f64_e32 v[156:157], v[8:9], v[156:157]
	scratch_store_b64 off, v[148:149], off offset:1228 ; 8-byte Folded Spill
	v_fma_f64 v[158:159], v[162:163], s[2:3], v[148:149]
	v_mul_f64_e32 v[148:149], s[38:39], v[234:235]
	s_delay_alu instid0(VALU_DEP_2) | instskip(SKIP_3) | instid1(VALU_DEP_2)
	v_add_f64_e32 v[156:157], v[158:159], v[156:157]
	scratch_store_b64 off, v[148:149], off offset:1520 ; 8-byte Folded Spill
	v_fma_f64 v[160:161], v[136:137], s[24:25], -v[148:149]
	v_mul_f64_e32 v[148:149], s[34:35], v[236:237]
	v_add_f64_e32 v[160:161], v[10:11], v[160:161]
	scratch_store_b64 off, v[148:149], off offset:1252 ; 8-byte Folded Spill
	v_fma_f64 v[166:167], v[175:176], s[2:3], -v[148:149]
	v_mul_f64_e32 v[148:149], s[48:49], v[238:239]
	s_delay_alu instid0(VALU_DEP_2) | instskip(SKIP_3) | instid1(VALU_DEP_2)
	v_add_f64_e32 v[160:161], v[166:167], v[160:161]
	scratch_store_b64 off, v[148:149], off offset:1244 ; 8-byte Folded Spill
	v_fma_f64 v[166:167], v[181:182], s[22:23], v[148:149]
	v_mul_f64_e32 v[148:149], s[48:49], v[240:241]
	v_add_f64_e32 v[156:157], v[166:167], v[156:157]
	scratch_store_b64 off, v[148:149], off offset:1284 ; 8-byte Folded Spill
	v_fma_f64 v[166:167], v[197:198], s[22:23], -v[148:149]
	v_mul_f64_e32 v[148:149], s[46:47], v[242:243]
	s_delay_alu instid0(VALU_DEP_2) | instskip(SKIP_3) | instid1(VALU_DEP_2)
	v_add_f64_e32 v[160:161], v[166:167], v[160:161]
	scratch_store_b64 off, v[148:149], off offset:1260 ; 8-byte Folded Spill
	v_fma_f64 v[166:167], v[189:190], s[8:9], v[148:149]
	;; [unrolled: 9-line block ×6, first 2 shown]
	v_mul_f64_e32 v[148:149], s[50:51], v[132:133]
	v_add_f64_e32 v[158:159], v[166:167], v[156:157]
	s_delay_alu instid0(VALU_DEP_2) | instskip(NEXT) | instid1(VALU_DEP_1)
	v_fma_f64 v[156:157], v[150:151], s[16:17], -v[148:149]
	v_add_f64_e32 v[160:161], v[156:157], v[160:161]
	scratch_store_b64 off, v[148:149], off offset:960 ; 8-byte Folded Spill
	v_fma_f64 v[156:157], v[249:250], s[22:23], v[187:188]
	v_mul_f64_e32 v[148:149], s[52:53], v[232:233]
	scratch_store_b128 off, v[158:161], off offset:72 ; 16-byte Folded Spill
	v_add_f64_e32 v[156:157], v[8:9], v[156:157]
	v_fma_f64 v[160:161], v[162:163], s[14:15], v[148:149]
	scratch_store_b64 off, v[148:149], off offset:1364 ; 8-byte Folded Spill
	v_mul_f64_e32 v[148:149], s[52:53], v[236:237]
	v_add_f64_e32 v[156:157], v[160:161], v[156:157]
	v_fma_f64 v[160:161], v[136:137], s[22:23], -v[191:192]
	scratch_store_b64 off, v[148:149], off offset:1416 ; 8-byte Folded Spill
	v_fma_f64 v[166:167], v[175:176], s[14:15], -v[148:149]
	v_mul_f64_e32 v[148:149], s[50:51], v[238:239]
	v_add_f64_e32 v[160:161], v[10:11], v[160:161]
	scratch_store_b64 off, v[148:149], off offset:1400 ; 8-byte Folded Spill
	v_add_f64_e32 v[160:161], v[166:167], v[160:161]
	v_fma_f64 v[166:167], v[181:182], s[16:17], v[148:149]
	v_mul_f64_e32 v[148:149], s[50:51], v[240:241]
	s_delay_alu instid0(VALU_DEP_2) | instskip(SKIP_3) | instid1(VALU_DEP_2)
	v_add_f64_e32 v[156:157], v[166:167], v[156:157]
	scratch_store_b64 off, v[148:149], off offset:1448 ; 8-byte Folded Spill
	v_fma_f64 v[166:167], v[197:198], s[16:17], -v[148:149]
	v_mul_f64_e32 v[148:149], s[42:43], v[242:243]
	v_add_f64_e32 v[160:161], v[166:167], v[160:161]
	scratch_store_b64 off, v[148:149], off offset:1440 ; 8-byte Folded Spill
	v_fma_f64 v[166:167], v[189:190], s[20:21], v[148:149]
	v_mul_f64_e32 v[148:149], s[42:43], v[244:245]
	s_delay_alu instid0(VALU_DEP_2) | instskip(SKIP_3) | instid1(VALU_DEP_2)
	v_add_f64_e32 v[156:157], v[166:167], v[156:157]
	scratch_store_b64 off, v[148:149], off offset:1472 ; 8-byte Folded Spill
	v_fma_f64 v[166:167], v[205:206], s[20:21], -v[148:149]
	v_mul_f64_e32 v[148:149], s[34:35], v[246:247]
	v_add_f64_e32 v[160:161], v[166:167], v[160:161]
	scratch_store_b64 off, v[148:149], off offset:1464 ; 8-byte Folded Spill
	;; [unrolled: 9-line block ×5, first 2 shown]
	v_fma_f64 v[166:167], v[134:135], s[18:19], v[148:149]
	v_mul_f64_e32 v[148:149], s[28:29], v[132:133]
	s_delay_alu instid0(VALU_DEP_2) | instskip(NEXT) | instid1(VALU_DEP_2)
	v_add_f64_e32 v[158:159], v[166:167], v[156:157]
	v_fma_f64 v[156:157], v[150:151], s[18:19], -v[148:149]
	s_delay_alu instid0(VALU_DEP_1)
	v_add_f64_e32 v[160:161], v[156:157], v[160:161]
	scratch_store_b64 off, v[148:149], off offset:1212 ; 8-byte Folded Spill
	v_mul_f64_e32 v[148:149], s[48:49], v[232:233]
	v_fma_f64 v[156:157], v[249:250], s[18:19], v[217:218]
	s_clause 0x1
	scratch_store_b128 off, v[158:161], off offset:88
	scratch_store_b64 off, v[148:149], off offset:1512
	v_fma_f64 v[166:167], v[162:163], s[22:23], v[148:149]
	v_mul_f64_e32 v[148:149], s[48:49], v[236:237]
	v_add_f64_e32 v[160:161], v[8:9], v[156:157]
	scratch_store_b64 off, v[148:149], off offset:1536 ; 8-byte Folded Spill
	v_fma_f64 v[172:173], v[175:176], s[22:23], -v[148:149]
	v_mul_f64_e32 v[148:149], s[36:37], v[238:239]
	v_add_f64_e32 v[170:171], v[166:167], v[160:161]
	v_fma_f64 v[160:161], v[136:137], s[18:19], -v[221:222]
	v_mul_f64_e32 v[166:167], s[30:31], v[242:243]
	s_delay_alu instid0(VALU_DEP_4)
	v_fma_f64 v[177:178], v[181:182], s[8:9], v[148:149]
	scratch_store_b64 off, v[148:149], off offset:1528 ; 8-byte Folded Spill
	v_add_f64_e32 v[160:161], v[10:11], v[160:161]
	v_mul_f64_e32 v[148:149], s[36:37], v[240:241]
	v_fma_f64 v[183:184], v[189:190], s[14:15], v[166:167]
	v_add_f64_e32 v[179:180], v[177:178], v[170:171]
	v_mul_f64_e32 v[177:178], s[56:57], v[246:247]
	v_add_f64_e32 v[172:173], v[172:173], v[160:161]
	v_fma_f64 v[170:171], v[197:198], s[8:9], -v[148:149]
	scratch_store_b64 off, v[148:149], off offset:1544 ; 8-byte Folded Spill
	v_mul_f64_e32 v[148:149], s[40:41], v[253:254]
	v_add_f64_e32 v[183:184], v[183:184], v[179:180]
	v_mul_f64_e32 v[179:180], s[30:31], v[244:245]
	v_fma_f64 v[199:200], v[193:194], s[24:25], v[177:178]
	v_add_f64_e32 v[172:173], v[170:171], v[172:173]
	scratch_store_b64 off, v[148:149], off offset:1372 ; 8-byte Folded Spill
	v_fma_f64 v[195:196], v[205:206], s[14:15], -v[179:180]
	v_add_f64_e32 v[199:200], v[199:200], v[183:184]
	v_mul_f64_e32 v[183:184], s[56:57], v[251:252]
	s_delay_alu instid0(VALU_DEP_3) | instskip(NEXT) | instid1(VALU_DEP_2)
	v_add_f64_e32 v[195:196], v[195:196], v[172:173]
	v_fma_f64 v[203:204], v[201:202], s[24:25], -v[183:184]
	s_delay_alu instid0(VALU_DEP_1) | instskip(SKIP_2) | instid1(VALU_DEP_2)
	v_add_f64_e32 v[195:196], v[203:204], v[195:196]
	v_fma_f64 v[203:204], v[168:169], s[16:17], v[148:149]
	v_mul_f64_e32 v[148:149], s[40:41], v[138:139]
	v_add_f64_e32 v[199:200], v[203:204], v[199:200]
	scratch_store_b64 off, v[148:149], off offset:1408 ; 8-byte Folded Spill
	v_fma_f64 v[203:204], v[185:186], s[16:17], -v[148:149]
	v_mul_f64_e32 v[148:149], s[34:35], v[140:141]
	s_delay_alu instid0(VALU_DEP_2) | instskip(SKIP_3) | instid1(VALU_DEP_2)
	v_add_f64_e32 v[195:196], v[203:204], v[195:196]
	scratch_store_b64 off, v[148:149], off offset:1348 ; 8-byte Folded Spill
	v_fma_f64 v[203:204], v[154:155], s[2:3], v[148:149]
	v_mul_f64_e32 v[148:149], s[34:35], v[142:143]
	v_add_f64_e32 v[199:200], v[203:204], v[199:200]
	scratch_store_b64 off, v[148:149], off offset:1356 ; 8-byte Folded Spill
	v_fma_f64 v[203:204], v[164:165], s[2:3], -v[148:149]
	v_mul_f64_e32 v[148:149], s[44:45], v[152:153]
	s_delay_alu instid0(VALU_DEP_2) | instskip(SKIP_3) | instid1(VALU_DEP_2)
	v_add_f64_e32 v[195:196], v[203:204], v[195:196]
	scratch_store_b64 off, v[148:149], off offset:1308 ; 8-byte Folded Spill
	v_fma_f64 v[203:204], v[134:135], s[20:21], v[148:149]
	v_mul_f64_e32 v[148:149], s[44:45], v[132:133]
	v_add_f64_e32 v[156:157], v[203:204], v[199:200]
	s_delay_alu instid0(VALU_DEP_2) | instskip(NEXT) | instid1(VALU_DEP_1)
	v_fma_f64 v[199:200], v[150:151], s[20:21], -v[148:149]
	v_add_f64_e32 v[158:159], v[199:200], v[195:196]
	v_fma_f64 v[195:196], v[249:250], s[14:15], v[225:226]
	s_clause 0x1
	scratch_store_b64 off, v[148:149], off offset:1332
	scratch_store_b128 off, v[156:159], off offset:104
	v_add_f64_e32 v[199:200], v[8:9], v[195:196]
	v_mul_f64_e32 v[195:196], s[44:45], v[232:233]
	s_delay_alu instid0(VALU_DEP_1) | instskip(NEXT) | instid1(VALU_DEP_1)
	v_fma_f64 v[203:204], v[162:163], s[20:21], v[195:196]
	v_add_f64_e32 v[207:208], v[203:204], v[199:200]
	v_fma_f64 v[199:200], v[136:137], s[14:15], -v[227:228]
	v_mul_f64_e32 v[203:204], s[44:45], v[236:237]
	s_delay_alu instid0(VALU_DEP_2) | instskip(NEXT) | instid1(VALU_DEP_2)
	v_add_f64_e32 v[199:200], v[10:11], v[199:200]
	v_fma_f64 v[209:210], v[175:176], s[20:21], -v[203:204]
	s_delay_alu instid0(VALU_DEP_1) | instskip(SKIP_1) | instid1(VALU_DEP_1)
	v_add_f64_e32 v[211:212], v[209:210], v[199:200]
	v_mul_f64_e32 v[199:200], s[38:39], v[238:239]
	v_fma_f64 v[209:210], v[181:182], s[24:25], v[199:200]
	s_delay_alu instid0(VALU_DEP_1) | instskip(SKIP_1) | instid1(VALU_DEP_1)
	v_add_f64_e32 v[213:214], v[209:210], v[207:208]
	v_mul_f64_e32 v[209:210], s[38:39], v[240:241]
	v_fma_f64 v[207:208], v[197:198], s[24:25], -v[209:210]
	s_delay_alu instid0(VALU_DEP_1) | instskip(SKIP_1) | instid1(VALU_DEP_1)
	v_add_f64_e32 v[211:212], v[207:208], v[211:212]
	v_mul_f64_e32 v[207:208], s[54:55], v[242:243]
	v_fma_f64 v[215:216], v[189:190], s[18:19], v[207:208]
	s_delay_alu instid0(VALU_DEP_1) | instskip(SKIP_1) | instid1(VALU_DEP_1)
	v_add_f64_e32 v[215:216], v[215:216], v[213:214]
	v_mul_f64_e32 v[213:214], s[54:55], v[244:245]
	;; [unrolled: 8-line block ×3, first 2 shown]
	v_fma_f64 v[215:216], v[201:202], s[8:9], -v[219:220]
	s_delay_alu instid0(VALU_DEP_1) | instskip(SKIP_1) | instid1(VALU_DEP_1)
	v_add_f64_e32 v[156:157], v[215:216], v[223:224]
	v_mul_f64_e32 v[215:216], s[34:35], v[253:254]
	v_fma_f64 v[223:224], v[168:169], s[2:3], v[215:216]
	s_delay_alu instid0(VALU_DEP_1) | instskip(SKIP_2) | instid1(VALU_DEP_2)
	v_add_f64_e32 v[148:149], v[223:224], v[148:149]
	v_mul_f64_e32 v[223:224], s[34:35], v[138:139]
	v_mul_f64_e32 v[138:139], s[44:45], v[138:139]
	v_fma_f64 v[158:159], v[185:186], s[2:3], -v[223:224]
	s_delay_alu instid0(VALU_DEP_1) | instskip(SKIP_4) | instid1(VALU_DEP_1)
	v_add_f64_e32 v[156:157], v[158:159], v[156:157]
	v_mul_f64_e32 v[158:159], s[50:51], v[140:141]
	v_mul_f64_e32 v[140:141], s[26:27], v[140:141]
	scratch_store_b64 off, v[158:159], off offset:1488 ; 8-byte Folded Spill
	v_fma_f64 v[158:159], v[154:155], s[16:17], v[158:159]
	v_add_f64_e32 v[148:149], v[158:159], v[148:149]
	v_mul_f64_e32 v[158:159], s[50:51], v[142:143]
	v_mul_f64_e32 v[142:143], s[26:27], v[142:143]
	scratch_store_b64 off, v[158:159], off offset:1496 ; 8-byte Folded Spill
	v_fma_f64 v[158:159], v[164:165], s[16:17], -v[158:159]
	s_delay_alu instid0(VALU_DEP_1) | instskip(SKIP_4) | instid1(VALU_DEP_1)
	v_add_f64_e32 v[156:157], v[158:159], v[156:157]
	v_mul_f64_e32 v[158:159], s[26:27], v[152:153]
	v_mul_f64_e32 v[152:153], s[56:57], v[152:153]
	scratch_store_b64 off, v[158:159], off offset:1424 ; 8-byte Folded Spill
	v_fma_f64 v[158:159], v[134:135], s[22:23], v[158:159]
	v_add_f64_e32 v[158:159], v[158:159], v[148:149]
	v_mul_f64_e32 v[148:149], s[26:27], v[132:133]
	v_mul_f64_e32 v[132:133], s[56:57], v[132:133]
	scratch_store_b64 off, v[148:149], off offset:1456 ; 8-byte Folded Spill
	v_fma_f64 v[148:149], v[150:151], s[22:23], -v[148:149]
	s_delay_alu instid0(VALU_DEP_1)
	v_add_f64_e32 v[160:161], v[148:149], v[156:157]
	v_mul_f64_e32 v[148:149], s[34:35], v[230:231]
	v_mul_f64_e32 v[156:157], s[46:47], v[232:233]
	;; [unrolled: 1-line block ×3, first 2 shown]
	scratch_store_b128 off, v[158:161], off offset:120 ; 16-byte Folded Spill
	v_fma_f64 v[158:159], v[249:250], s[2:3], -v[148:149]
	v_fma_f64 v[230:231], v[162:163], s[8:9], -v[156:157]
	v_fma_f64 v[236:237], v[175:176], s[8:9], v[232:233]
	v_fma_f64 v[148:149], v[249:250], s[2:3], v[148:149]
	;; [unrolled: 1-line block ×3, first 2 shown]
	v_add_f64_e32 v[158:159], v[8:9], v[158:159]
	s_delay_alu instid0(VALU_DEP_3) | instskip(NEXT) | instid1(VALU_DEP_2)
	v_add_f64_e32 v[148:149], v[8:9], v[148:149]
	v_add_f64_e32 v[158:159], v[230:231], v[158:159]
	v_mul_f64_e32 v[230:231], s[34:35], v[234:235]
	s_delay_alu instid0(VALU_DEP_3) | instskip(NEXT) | instid1(VALU_DEP_2)
	v_add_f64_e32 v[148:149], v[156:157], v[148:149]
	v_fma_f64 v[234:235], v[136:137], s[2:3], v[230:231]
	v_fma_f64 v[156:157], v[136:137], s[2:3], -v[230:231]
	scratch_load_b32 v230, off, off offset:20 ; 4-byte Folded Reload
	v_add_f64_e32 v[234:235], v[10:11], v[234:235]
	v_add_f64_e32 v[156:157], v[10:11], v[156:157]
	s_delay_alu instid0(VALU_DEP_2) | instskip(SKIP_1) | instid1(VALU_DEP_1)
	v_add_f64_e32 v[234:235], v[236:237], v[234:235]
	v_mul_f64_e32 v[236:237], s[30:31], v[238:239]
	v_fma_f64 v[238:239], v[181:182], s[14:15], -v[236:237]
	s_delay_alu instid0(VALU_DEP_1) | instskip(SKIP_1) | instid1(VALU_DEP_1)
	v_add_f64_e32 v[158:159], v[238:239], v[158:159]
	v_mul_f64_e32 v[238:239], s[30:31], v[240:241]
	v_fma_f64 v[240:241], v[197:198], s[14:15], v[238:239]
	s_delay_alu instid0(VALU_DEP_1) | instskip(SKIP_1) | instid1(VALU_DEP_1)
	v_add_f64_e32 v[234:235], v[240:241], v[234:235]
	v_mul_f64_e32 v[240:241], s[50:51], v[242:243]
	v_fma_f64 v[242:243], v[189:190], s[16:17], -v[240:241]
	s_delay_alu instid0(VALU_DEP_1) | instskip(SKIP_1) | instid1(VALU_DEP_1)
	v_add_f64_e32 v[158:159], v[242:243], v[158:159]
	v_mul_f64_e32 v[242:243], s[50:51], v[244:245]
	v_fma_f64 v[244:245], v[205:206], s[16:17], v[242:243]
	s_delay_alu instid0(VALU_DEP_1) | instskip(SKIP_1) | instid1(VALU_DEP_1)
	;; [unrolled: 8-line block ×3, first 2 shown]
	v_add_f64_e32 v[234:235], v[251:252], v[234:235]
	v_mul_f64_e32 v[251:252], s[44:45], v[253:254]
	v_fma_f64 v[253:254], v[168:169], s[20:21], -v[251:252]
	s_delay_alu instid0(VALU_DEP_1) | instskip(SKIP_2) | instid1(VALU_DEP_2)
	v_add_f64_e32 v[158:159], v[253:254], v[158:159]
	v_fma_f64 v[253:254], v[185:186], s[20:21], v[138:139]
	v_fma_f64 v[138:139], v[185:186], s[20:21], -v[138:139]
	v_add_f64_e32 v[234:235], v[253:254], v[234:235]
	v_fma_f64 v[253:254], v[154:155], s[22:23], -v[140:141]
	v_fma_f64 v[140:141], v[154:155], s[22:23], v[140:141]
	s_delay_alu instid0(VALU_DEP_2) | instskip(SKIP_2) | instid1(VALU_DEP_2)
	v_add_f64_e32 v[158:159], v[253:254], v[158:159]
	v_fma_f64 v[253:254], v[164:165], s[22:23], v[142:143]
	v_fma_f64 v[142:143], v[164:165], s[22:23], -v[142:143]
	v_add_f64_e32 v[234:235], v[253:254], v[234:235]
	v_fma_f64 v[253:254], v[134:135], s[24:25], -v[152:153]
	s_delay_alu instid0(VALU_DEP_1) | instskip(SKIP_2) | instid1(VALU_DEP_2)
	v_add_f64_e32 v[170:171], v[253:254], v[158:159]
	v_fma_f64 v[158:159], v[150:151], s[24:25], v[132:133]
	v_fma_f64 v[132:133], v[150:151], s[24:25], -v[132:133]
	v_add_f64_e32 v[172:173], v[158:159], v[234:235]
	v_fma_f64 v[158:159], v[175:176], s[8:9], -v[232:233]
	s_delay_alu instid0(VALU_DEP_1) | instskip(SKIP_1) | instid1(VALU_DEP_1)
	v_add_f64_e32 v[156:157], v[158:159], v[156:157]
	v_fma_f64 v[158:159], v[181:182], s[14:15], v[236:237]
	v_add_f64_e32 v[148:149], v[158:159], v[148:149]
	v_fma_f64 v[158:159], v[197:198], s[14:15], -v[238:239]
	s_delay_alu instid0(VALU_DEP_1) | instskip(SKIP_1) | instid1(VALU_DEP_1)
	v_add_f64_e32 v[156:157], v[158:159], v[156:157]
	v_fma_f64 v[158:159], v[189:190], s[16:17], v[240:241]
	v_add_f64_e32 v[148:149], v[158:159], v[148:149]
	v_fma_f64 v[158:159], v[205:206], s[16:17], -v[242:243]
	s_delay_alu instid0(VALU_DEP_1) | instskip(SKIP_1) | instid1(VALU_DEP_1)
	v_add_f64_e32 v[156:157], v[158:159], v[156:157]
	v_fma_f64 v[158:159], v[193:194], s[18:19], v[244:245]
	v_add_f64_e32 v[148:149], v[158:159], v[148:149]
	v_fma_f64 v[158:159], v[201:202], s[18:19], -v[246:247]
	s_delay_alu instid0(VALU_DEP_1) | instskip(SKIP_1) | instid1(VALU_DEP_2)
	v_add_f64_e32 v[156:157], v[158:159], v[156:157]
	v_fma_f64 v[158:159], v[168:169], s[20:21], v[251:252]
	v_add_f64_e32 v[138:139], v[138:139], v[156:157]
	s_delay_alu instid0(VALU_DEP_2) | instskip(NEXT) | instid1(VALU_DEP_2)
	v_add_f64_e32 v[148:149], v[158:159], v[148:149]
	v_add_f64_e32 v[138:139], v[142:143], v[138:139]
	s_delay_alu instid0(VALU_DEP_2) | instskip(SKIP_1) | instid1(VALU_DEP_1)
	v_add_f64_e32 v[140:141], v[140:141], v[148:149]
	v_fma_f64 v[142:143], v[134:135], s[24:25], v[152:153]
	v_add_f64_e32 v[140:141], v[142:143], v[140:141]
	s_delay_alu instid0(VALU_DEP_4)
	v_add_f64_e32 v[142:143], v[132:133], v[138:139]
	scratch_load_b32 v133, off, off         ; 4-byte Folded Reload
	s_clause 0x1
	scratch_store_b128 off, v[170:173], off offset:136
	scratch_store_b128 off, v[140:143], off offset:152
	global_wb scope:SCOPE_SE
	s_wait_loadcnt 0x0
	s_wait_storecnt 0x0
	s_wait_kmcnt 0x0
	s_barrier_signal -1
	s_barrier_wait -1
	global_inv scope:SCOPE_SE
	v_mul_lo_u16 v132, v133, 17
	s_delay_alu instid0(VALU_DEP_1) | instskip(NEXT) | instid1(VALU_DEP_1)
	v_and_b32_e32 v132, 0xffff, v132
	v_lshl_add_u32 v132, v132, 4, v230
	ds_store_b128 v132, v[24:27]
	ds_store_b128 v132, v[32:35] offset:16
	ds_store_b128 v132, v[40:43] offset:32
	;; [unrolled: 1-line block ×16, first 2 shown]
	v_add_co_u32 v28, null, v133, 17
	s_delay_alu instid0(VALU_DEP_1)
	v_mul_u32_u24_e32 v24, 17, v28
	s_clause 0x1
	scratch_store_b32 off, v132, off offset:1056
	scratch_store_b32 off, v24, off offset:1396
	s_and_saveexec_b32 s26, vcc_lo
	s_cbranch_execz .LBB0_7
; %bb.6:
	v_add_f64_e32 v[20:21], v[8:9], v[20:21]
	v_add_f64_e32 v[22:23], v[10:11], v[22:23]
	s_clause 0xa
	scratch_load_b64 v[35:36], off, off offset:1520 th:TH_LOAD_LU
	scratch_load_b64 v[37:38], off, off offset:1504 th:TH_LOAD_LU
	scratch_load_b64 v[39:40], off, off offset:1432 th:TH_LOAD_LU
	scratch_load_b64 v[41:42], off, off offset:1380 th:TH_LOAD_LU
	scratch_load_b64 v[43:44], off, off offset:1324 th:TH_LOAD_LU
	scratch_load_b64 v[67:68], off, off offset:1544 th:TH_LOAD_LU
	scratch_load_b64 v[69:70], off, off offset:1536 th:TH_LOAD_LU
	scratch_load_b64 v[97:98], off, off offset:1316 th:TH_LOAD_LU
	scratch_load_b64 v[103:104], off, off offset:1300 th:TH_LOAD_LU
	scratch_load_b64 v[99:100], off, off offset:1284 th:TH_LOAD_LU
	scratch_load_b64 v[101:102], off, off offset:1252 th:TH_LOAD_LU
	v_mul_f64_e32 v[26:27], s[18:19], v[249:250]
	s_clause 0x4
	scratch_load_b64 v[45:46], off, off offset:1276 th:TH_LOAD_LU
	scratch_load_b64 v[47:48], off, off offset:1008 th:TH_LOAD_LU
	;; [unrolled: 1-line block ×5, first 2 shown]
	v_mul_f64_e32 v[33:34], s[24:25], v[136:137]
	v_mul_f64_e32 v[65:66], s[8:9], v[197:198]
	;; [unrolled: 1-line block ×5, first 2 shown]
	s_clause 0x4
	scratch_load_b64 v[127:128], off, off offset:912 th:TH_LOAD_LU
	scratch_load_b64 v[129:130], off, off offset:880 th:TH_LOAD_LU
	;; [unrolled: 1-line block ×5, first 2 shown]
	v_mul_f64_e32 v[24:25], s[18:19], v[136:137]
	v_mul_f64_e32 v[29:30], s[22:23], v[136:137]
	scratch_load_b64 v[140:141], off, off offset:752 th:TH_LOAD_LU ; 8-byte Folded Reload
	v_mul_f64_e32 v[31:32], s[22:23], v[249:250]
	scratch_load_b64 v[142:143], off, off offset:664 th:TH_LOAD_LU ; 8-byte Folded Reload
	;; [unrolled: 2-line block ×3, first 2 shown]
	v_mul_f64_e32 v[59:60], s[20:21], v[162:163]
	v_mul_f64_e32 v[57:58], s[24:25], v[181:182]
	v_add_f64_e32 v[20:21], v[20:21], v[72:73]
	v_add_f64_e32 v[22:23], v[22:23], v[74:75]
	v_mul_f64_e32 v[73:74], s[8:9], v[181:182]
	scratch_load_b64 v[231:232], off, off offset:960 th:TH_LOAD_LU ; 8-byte Folded Reload
	v_mul_f64_e32 v[71:72], s[14:15], v[189:190]
	v_mul_f64_e32 v[51:52], s[2:3], v[168:169]
	s_clause 0x6
	scratch_load_b64 v[235:236], off, off offset:768 th:TH_LOAD_LU
	scratch_load_b64 v[172:173], off, off offset:1372 th:TH_LOAD_LU
	;; [unrolled: 1-line block ×7, first 2 shown]
	v_add_f64_e64 v[26:27], v[26:27], -v[217:218]
	scratch_load_b64 v[217:218], off, off offset:1456 th:TH_LOAD_LU ; 8-byte Folded Reload
	v_add_f64_e64 v[55:56], v[55:56], -v[207:208]
	scratch_load_b64 v[207:208], off, off offset:1024 th:TH_LOAD_LU ; 8-byte Folded Reload
	v_add_f64_e32 v[61:62], v[183:184], v[61:62]
	scratch_load_b64 v[183:184], off, off offset:928 th:TH_LOAD_LU ; 8-byte Folded Reload
	v_add_f64_e32 v[63:64], v[179:180], v[63:64]
	;; [unrolled: 2-line block ×3, first 2 shown]
	v_add_f64_e32 v[29:30], v[191:192], v[29:30]
	scratch_load_b64 v[191:192], off, off offset:728 th:TH_LOAD_LU ; 8-byte Folded Reload
	v_add_f64_e64 v[31:32], v[31:32], -v[187:188]
	scratch_load_b64 v[187:188], off, off offset:920 th:TH_LOAD_LU ; 8-byte Folded Reload
	v_add_f64_e64 v[53:54], v[53:54], -v[211:212]
	s_clause 0x1
	scratch_load_b64 v[211:212], off, off offset:848 th:TH_LOAD_LU
	scratch_load_b64 v[221:222], off, off offset:1332 th:TH_LOAD_LU
	v_add_f64_e64 v[57:58], v[57:58], -v[199:200]
	v_add_f64_e32 v[20:21], v[20:21], v[76:77]
	scratch_load_b64 v[75:76], off, off offset:1528 th:TH_LOAD_LU ; 8-byte Folded Reload
	v_add_f64_e32 v[22:23], v[22:23], v[78:79]
	scratch_load_b64 v[77:78], off, off offset:1512 th:TH_LOAD_LU ; 8-byte Folded Reload
	v_add_f64_e64 v[71:72], v[71:72], -v[166:167]
	s_clause 0x1
	scratch_load_b64 v[166:167], off, off offset:616 th:TH_LOAD_LU
	scratch_load_b64 v[199:200], off, off offset:1348 th:TH_LOAD_LU
	v_add_f64_e64 v[59:60], v[59:60], -v[195:196]
	scratch_load_b64 v[195:196], off, off offset:1488 th:TH_LOAD_LU ; 8-byte Folded Reload
	v_add_f64_e64 v[51:52], v[51:52], -v[215:216]
	scratch_load_b64 v[215:216], off, off offset:680 th:TH_LOAD_LU ; 8-byte Folded Reload
	v_add_f64_e32 v[26:27], v[8:9], v[26:27]
	v_add_f64_e32 v[24:25], v[10:11], v[24:25]
	;; [unrolled: 1-line block ×5, first 2 shown]
	scratch_load_b64 v[79:80], off, off offset:1480 th:TH_LOAD_LU ; 8-byte Folded Reload
	v_add_f64_e32 v[22:23], v[22:23], v[82:83]
	scratch_load_b64 v[81:82], off, off offset:1472 th:TH_LOAD_LU ; 8-byte Folded Reload
	v_add_f64_e32 v[20:21], v[20:21], v[84:85]
	;; [unrolled: 2-line block ×7, first 2 shown]
	s_clause 0x1
	scratch_load_b64 v[93:94], off, off offset:1364 th:TH_LOAD_LU
	scratch_load_b64 v[95:96], off, off offset:1340 th:TH_LOAD_LU
	v_add_f64_e32 v[20:21], v[20:21], v[108:109]
	scratch_load_b64 v[107:108], off, off offset:1244 th:TH_LOAD_LU ; 8-byte Folded Reload
	v_add_f64_e32 v[22:23], v[22:23], v[110:111]
	scratch_load_b64 v[109:110], off, off offset:1228 th:TH_LOAD_LU ; 8-byte Folded Reload
	v_add_f64_e32 v[20:21], v[20:21], v[116:117]
	v_add_f64_e32 v[22:23], v[22:23], v[118:119]
	scratch_load_b64 v[117:118], off, off offset:1060 th:TH_LOAD_LU ; 8-byte Folded Reload
	s_wait_loadcnt 0x39
	v_add_f64_e32 v[33:34], v[35:36], v[33:34]
	v_mul_f64_e32 v[35:36], s[24:25], v[249:250]
	s_wait_loadcnt 0x34
	v_add_f64_e32 v[65:66], v[67:68], v[65:66]
	v_mul_f64_e32 v[67:68], s[22:23], v[175:176]
	v_add_f64_e32 v[20:21], v[20:21], v[120:121]
	scratch_load_b64 v[119:120], off, off offset:1124 th:TH_LOAD_LU ; 8-byte Folded Reload
	v_add_f64_e32 v[22:23], v[22:23], v[122:123]
	s_clause 0x1
	scratch_load_b64 v[123:124], off, off offset:1040 th:TH_LOAD_LU
	scratch_load_b64 v[121:122], off, off offset:1092 th:TH_LOAD_LU
	v_add_f64_e32 v[33:34], v[10:11], v[33:34]
	v_add_f64_e64 v[35:36], v[35:36], -v[37:38]
	v_mul_f64_e32 v[37:38], s[20:21], v[136:137]
	s_wait_loadcnt 0x36
	v_add_f64_e32 v[67:68], v[69:70], v[67:68]
	v_mul_f64_e32 v[69:70], s[24:25], v[193:194]
	v_add_f64_e32 v[20:21], v[20:21], v[144:145]
	scratch_load_b64 v[144:145], off, off offset:632 th:TH_LOAD_LU ; 8-byte Folded Reload
	v_add_f64_e32 v[22:23], v[22:23], v[146:147]
	scratch_load_b64 v[146:147], off, off offset:536 th:TH_LOAD_LU ; 8-byte Folded Reload
	s_wait_loadcnt 0x16
	v_add_f64_e64 v[73:74], v[73:74], -v[75:76]
	v_mul_f64_e32 v[75:76], s[22:23], v[162:163]
	v_add_f64_e32 v[35:36], v[8:9], v[35:36]
	v_add_f64_e32 v[24:25], v[67:68], v[24:25]
	v_add_f64_e64 v[69:70], v[69:70], -v[177:178]
	v_add_f64_e32 v[20:21], v[20:21], v[112:113]
	scratch_load_b64 v[111:112], off, off offset:1188 th:TH_LOAD_LU ; 8-byte Folded Reload
	v_add_f64_e32 v[22:23], v[22:23], v[114:115]
	s_clause 0x1
	scratch_load_b64 v[113:114], off, off offset:1140 th:TH_LOAD_LU
	scratch_load_b64 v[115:116], off, off offset:1108 th:TH_LOAD_LU
	s_wait_loadcnt 0x18
	v_add_f64_e64 v[75:76], v[75:76], -v[77:78]
	v_mul_f64_e32 v[77:78], s[2:3], v[201:202]
	v_add_f64_e32 v[24:25], v[65:66], v[24:25]
	v_add_f64_e32 v[16:17], v[20:21], v[16:17]
	v_mul_f64_e32 v[20:21], s[14:15], v[136:137]
	v_add_f64_e32 v[18:19], v[22:23], v[18:19]
	v_mul_f64_e32 v[22:23], s[14:15], v[249:250]
	v_add_f64_e32 v[26:27], v[75:76], v[26:27]
	s_wait_loadcnt 0x13
	v_add_f64_e32 v[77:78], v[79:80], v[77:78]
	v_mul_f64_e32 v[79:80], s[20:21], v[205:206]
	v_add_f64_e32 v[24:25], v[63:64], v[24:25]
	v_add_f64_e32 v[12:13], v[16:17], v[12:13]
	v_mul_f64_e32 v[16:17], s[2:3], v[185:186]
	v_add_f64_e32 v[14:15], v[18:19], v[14:15]
	v_mul_f64_e32 v[18:19], s[8:9], v[201:202]
	v_add_f64_e64 v[22:23], v[22:23], -v[225:226]
	v_add_f64_e32 v[20:21], v[227:228], v[20:21]
	s_clause 0x1
	scratch_load_b64 v[225:226], off, off offset:1212 th:TH_LOAD_LU
	scratch_load_b64 v[227:228], off, off offset:1204 th:TH_LOAD_LU
	v_add_f64_e32 v[26:27], v[73:74], v[26:27]
	s_wait_loadcnt 0x14
	v_add_f64_e32 v[79:80], v[81:82], v[79:80]
	v_mul_f64_e32 v[81:82], s[16:17], v[197:198]
	v_add_f64_e32 v[16:17], v[223:224], v[16:17]
	scratch_load_b64 v[223:224], off, off offset:1308 th:TH_LOAD_LU ; 8-byte Folded Reload
	v_add_f64_e32 v[18:19], v[219:220], v[18:19]
	scratch_load_b64 v[219:220], off, off offset:1424 th:TH_LOAD_LU ; 8-byte Folded Reload
	v_add_f64_e32 v[37:38], v[39:40], v[37:38]
	v_mul_f64_e32 v[39:40], s[20:21], v[249:250]
	scratch_load_b64 v[177:178], off, off offset:1268 th:TH_LOAD_LU ; 8-byte Folded Reload
	v_add_f64_e32 v[22:23], v[8:9], v[22:23]
	v_add_f64_e32 v[20:21], v[10:11], v[20:21]
	;; [unrolled: 1-line block ×3, first 2 shown]
	s_wait_loadcnt 0x16
	v_add_f64_e32 v[81:82], v[83:84], v[81:82]
	v_mul_f64_e32 v[83:84], s[14:15], v[175:176]
	v_add_f64_e32 v[37:38], v[10:11], v[37:38]
	v_add_f64_e64 v[39:40], v[39:40], -v[41:42]
	v_mul_f64_e32 v[41:42], s[16:17], v[136:137]
	v_add_f64_e32 v[22:23], v[59:60], v[22:23]
	scratch_load_b64 v[59:60], off, off offset:712 th:TH_LOAD_LU ; 8-byte Folded Reload
	s_wait_loadcnt 0x16
	v_add_f64_e32 v[83:84], v[85:86], v[83:84]
	v_mul_f64_e32 v[85:86], s[2:3], v[193:194]
	v_add_f64_e32 v[39:40], v[8:9], v[39:40]
	v_add_f64_e32 v[41:42], v[43:44], v[41:42]
	v_mul_f64_e32 v[43:44], s[16:17], v[249:250]
	v_add_f64_e32 v[22:23], v[57:58], v[22:23]
	scratch_load_b64 v[57:58], off, off offset:568 th:TH_LOAD_LU ; 8-byte Folded Reload
	v_add_f64_e32 v[29:30], v[83:84], v[29:30]
	s_wait_loadcnt 0x16
	v_add_f64_e64 v[85:86], v[85:86], -v[87:88]
	v_mul_f64_e32 v[87:88], s[20:21], v[189:190]
	v_add_f64_e32 v[41:42], v[10:11], v[41:42]
	v_add_f64_e64 v[43:44], v[43:44], -v[45:46]
	v_mul_f64_e32 v[45:46], s[8:9], v[136:137]
	scratch_load_b64 v[136:137], off, off offset:864 th:TH_LOAD_LU ; 8-byte Folded Reload
	v_add_f64_e32 v[22:23], v[55:56], v[22:23]
	scratch_load_b64 v[55:56], off, off offset:472 th:TH_LOAD_LU ; 8-byte Folded Reload
	v_add_f64_e32 v[29:30], v[81:82], v[29:30]
	s_wait_loadcnt 0x17
	v_add_f64_e64 v[87:88], v[87:88], -v[89:90]
	v_mul_f64_e32 v[89:90], s[16:17], v[181:182]
	v_add_f64_e32 v[43:44], v[8:9], v[43:44]
	v_add_f64_e32 v[45:46], v[47:48], v[45:46]
	v_mul_f64_e32 v[47:48], s[8:9], v[249:250]
	v_add_f64_e32 v[29:30], v[79:80], v[29:30]
	s_wait_loadcnt 0x16
	v_add_f64_e64 v[89:90], v[89:90], -v[91:92]
	v_mul_f64_e32 v[91:92], s[14:15], v[162:163]
	v_add_f64_e32 v[10:11], v[10:11], v[45:46]
	v_add_f64_e64 v[47:48], v[47:48], -v[49:50]
	v_mul_f64_e32 v[49:50], s[20:21], v[175:176]
	v_mul_f64_e32 v[45:46], s[18:19], v[205:206]
	s_wait_loadcnt 0x15
	v_add_f64_e64 v[91:92], v[91:92], -v[93:94]
	v_mul_f64_e32 v[93:94], s[20:21], v[201:202]
	v_add_f64_e32 v[8:9], v[8:9], v[47:48]
	v_add_f64_e32 v[49:50], v[203:204], v[49:50]
	scratch_load_b64 v[203:204], off, off offset:1220 th:TH_LOAD_LU ; 8-byte Folded Reload
	v_mul_f64_e32 v[47:48], s[24:25], v[197:198]
	v_add_f64_e32 v[45:46], v[213:214], v[45:46]
	scratch_load_b64 v[213:214], off, off offset:696 th:TH_LOAD_LU ; 8-byte Folded Reload
	v_add_f64_e32 v[31:32], v[91:92], v[31:32]
	s_wait_loadcnt 0x16
	v_add_f64_e32 v[93:94], v[95:96], v[93:94]
	v_mul_f64_e32 v[95:96], s[8:9], v[205:206]
	v_add_f64_e32 v[20:21], v[49:50], v[20:21]
	v_mul_f64_e32 v[49:50], s[14:15], v[134:135]
	v_add_f64_e32 v[47:48], v[209:210], v[47:48]
	scratch_load_b64 v[209:210], off, off offset:896 th:TH_LOAD_LU ; 8-byte Folded Reload
	v_add_f64_e32 v[31:32], v[89:90], v[31:32]
	v_add_f64_e32 v[95:96], v[97:98], v[95:96]
	v_mul_f64_e32 v[97:98], s[22:23], v[197:198]
	v_add_f64_e32 v[20:21], v[47:48], v[20:21]
	v_mul_f64_e32 v[47:48], s[8:9], v[150:151]
	v_add_f64_e32 v[31:32], v[87:88], v[31:32]
	s_delay_alu instid0(VALU_DEP_4) | instskip(SKIP_4) | instid1(VALU_DEP_4)
	v_add_f64_e32 v[97:98], v[99:100], v[97:98]
	v_mul_f64_e32 v[99:100], s[2:3], v[175:176]
	v_add_f64_e32 v[20:21], v[45:46], v[20:21]
	v_mul_f64_e32 v[45:46], s[8:9], v[134:135]
	v_add_f64_e32 v[31:32], v[85:86], v[31:32]
	v_add_f64_e32 v[99:100], v[101:102], v[99:100]
	v_mul_f64_e32 v[101:102], s[20:21], v[193:194]
	v_add_f64_e32 v[18:19], v[18:19], v[20:21]
	v_add_f64_e32 v[20:21], v[53:54], v[22:23]
	v_add_f64_e32 v[22:23], v[61:62], v[24:25]
	v_add_f64_e32 v[24:25], v[69:70], v[26:27]
	v_add_f64_e32 v[26:27], v[77:78], v[29:30]
	scratch_load_b64 v[53:54], off, off offset:168 th:TH_LOAD_LU ; 8-byte Folded Reload
	s_wait_loadcnt 0x6
	v_add_f64_e32 v[47:48], v[57:58], v[47:48]
	v_add_f64_e32 v[57:58], v[12:13], v[4:5]
	;; [unrolled: 1-line block ×3, first 2 shown]
	v_add_f64_e64 v[101:102], v[101:102], -v[103:104]
	v_mul_f64_e32 v[103:104], s[8:9], v[189:190]
	v_add_f64_e32 v[16:17], v[16:17], v[18:19]
	v_add_f64_e32 v[18:19], v[51:52], v[20:21]
	scratch_load_b64 v[51:52], off, off offset:12 th:TH_LOAD_LU ; 8-byte Folded Reload
	v_add_f64_e32 v[0:1], v[57:58], v[0:1]
	s_wait_loadcnt 0x5
	v_add_f64_e64 v[45:46], v[45:46], -v[55:56]
	v_add_f64_e32 v[55:56], v[14:15], v[6:7]
	v_add_f64_e32 v[33:34], v[97:98], v[33:34]
	v_add_f64_e64 v[103:104], v[103:104], -v[105:106]
	v_mul_f64_e32 v[105:106], s[22:23], v[181:182]
	s_delay_alu instid0(VALU_DEP_4) | instskip(NEXT) | instid1(VALU_DEP_4)
	v_add_f64_e32 v[2:3], v[55:56], v[2:3]
	v_add_f64_e32 v[33:34], v[95:96], v[33:34]
	s_delay_alu instid0(VALU_DEP_3) | instskip(SKIP_1) | instid1(VALU_DEP_3)
	v_add_f64_e64 v[105:106], v[105:106], -v[107:108]
	v_mul_f64_e32 v[107:108], s[2:3], v[162:163]
	v_add_f64_e32 v[29:30], v[93:94], v[33:34]
	s_delay_alu instid0(VALU_DEP_2) | instskip(SKIP_1) | instid1(VALU_DEP_2)
	v_add_f64_e64 v[107:108], v[107:108], -v[109:110]
	v_mul_f64_e32 v[109:110], s[16:17], v[201:202]
	v_add_f64_e32 v[35:36], v[107:108], v[35:36]
	s_delay_alu instid0(VALU_DEP_2) | instskip(SKIP_1) | instid1(VALU_DEP_3)
	v_add_f64_e32 v[109:110], v[111:112], v[109:110]
	v_mul_f64_e32 v[111:112], s[22:23], v[205:206]
	v_add_f64_e32 v[35:36], v[105:106], v[35:36]
	s_delay_alu instid0(VALU_DEP_2) | instskip(SKIP_1) | instid1(VALU_DEP_3)
	v_add_f64_e32 v[111:112], v[113:114], v[111:112]
	;; [unrolled: 4-line block ×3, first 2 shown]
	v_mul_f64_e32 v[115:116], s[18:19], v[175:176]
	v_add_f64_e32 v[35:36], v[101:102], v[35:36]
	s_delay_alu instid0(VALU_DEP_2) | instskip(SKIP_1) | instid1(VALU_DEP_2)
	v_add_f64_e32 v[115:116], v[117:118], v[115:116]
	v_mul_f64_e32 v[117:118], s[16:17], v[193:194]
	v_add_f64_e32 v[37:38], v[115:116], v[37:38]
	s_delay_alu instid0(VALU_DEP_2) | instskip(SKIP_1) | instid1(VALU_DEP_3)
	v_add_f64_e64 v[117:118], v[117:118], -v[119:120]
	v_mul_f64_e32 v[119:120], s[22:23], v[189:190]
	v_add_f64_e32 v[37:38], v[113:114], v[37:38]
	s_delay_alu instid0(VALU_DEP_2) | instskip(SKIP_1) | instid1(VALU_DEP_3)
	v_add_f64_e64 v[119:120], v[119:120], -v[121:122]
	;; [unrolled: 4-line block ×3, first 2 shown]
	v_mul_f64_e32 v[123:124], s[18:19], v[162:163]
	v_add_f64_e32 v[33:34], v[109:110], v[37:38]
	s_delay_alu instid0(VALU_DEP_2) | instskip(SKIP_1) | instid1(VALU_DEP_2)
	v_add_f64_e64 v[123:124], v[123:124], -v[125:126]
	v_mul_f64_e32 v[125:126], s[2:3], v[205:206]
	v_add_f64_e32 v[39:40], v[123:124], v[39:40]
	s_delay_alu instid0(VALU_DEP_2) | instskip(SKIP_1) | instid1(VALU_DEP_3)
	v_add_f64_e32 v[125:126], v[127:128], v[125:126]
	v_mul_f64_e32 v[127:128], s[18:19], v[197:198]
	v_add_f64_e32 v[39:40], v[121:122], v[39:40]
	s_delay_alu instid0(VALU_DEP_2) | instskip(SKIP_1) | instid1(VALU_DEP_3)
	v_add_f64_e32 v[127:128], v[129:130], v[127:128]
	;; [unrolled: 4-line block ×3, first 2 shown]
	v_mul_f64_e32 v[131:132], s[2:3], v[189:190]
	v_add_f64_e32 v[39:40], v[117:118], v[39:40]
	s_delay_alu instid0(VALU_DEP_3) | instskip(NEXT) | instid1(VALU_DEP_3)
	v_add_f64_e32 v[41:42], v[129:130], v[41:42]
	v_add_f64_e64 v[131:132], v[131:132], -v[136:137]
	v_mul_f64_e32 v[136:137], s[18:19], v[181:182]
	s_delay_alu instid0(VALU_DEP_3) | instskip(NEXT) | instid1(VALU_DEP_2)
	v_add_f64_e32 v[41:42], v[127:128], v[41:42]
	v_add_f64_e64 v[136:137], v[136:137], -v[138:139]
	v_mul_f64_e32 v[138:139], s[24:25], v[162:163]
	s_delay_alu instid0(VALU_DEP_3) | instskip(NEXT) | instid1(VALU_DEP_2)
	v_add_f64_e32 v[41:42], v[125:126], v[41:42]
	v_add_f64_e64 v[138:139], v[138:139], -v[140:141]
	v_mul_f64_e32 v[140:141], s[24:25], v[205:206]
	scratch_load_b64 v[205:206], off, off offset:1076 th:TH_LOAD_LU ; 8-byte Folded Reload
	v_add_f64_e32 v[43:44], v[138:139], v[43:44]
	v_add_f64_e32 v[140:141], v[142:143], v[140:141]
	v_mul_f64_e32 v[142:143], s[20:21], v[197:198]
	scratch_load_b64 v[197:198], off, off offset:1356 th:TH_LOAD_LU ; 8-byte Folded Reload
	v_add_f64_e32 v[43:44], v[136:137], v[43:44]
	v_add_f64_e32 v[142:143], v[144:145], v[142:143]
	;; [unrolled: 4-line block ×3, first 2 shown]
	v_mul_f64_e32 v[146:147], s[16:17], v[162:163]
	scratch_load_b64 v[162:163], off, off offset:648 th:TH_LOAD_LU ; 8-byte Folded Reload
	v_add_f64_e32 v[10:11], v[144:145], v[10:11]
	v_add_f64_e64 v[146:147], v[146:147], -v[148:149]
	v_mul_f64_e32 v[148:149], s[20:21], v[181:182]
	scratch_load_b64 v[181:182], off, off offset:1156 th:TH_LOAD_LU ; 8-byte Folded Reload
	v_add_f64_e32 v[10:11], v[142:143], v[10:11]
	v_add_f64_e32 v[8:9], v[146:147], v[8:9]
	v_add_f64_e64 v[148:149], v[148:149], -v[152:153]
	v_mul_f64_e32 v[152:153], s[24:25], v[189:190]
	scratch_load_b64 v[189:190], off, off offset:736 th:TH_LOAD_LU ; 8-byte Folded Reload
	v_add_f64_e32 v[10:11], v[140:141], v[10:11]
	v_add_f64_e32 v[8:9], v[148:149], v[8:9]
	v_add_f64_e64 v[152:153], v[152:153], -v[156:157]
	v_mul_f64_e32 v[156:157], s[14:15], v[201:202]
	s_delay_alu instid0(VALU_DEP_2) | instskip(NEXT) | instid1(VALU_DEP_2)
	v_add_f64_e32 v[8:9], v[152:153], v[8:9]
	v_add_f64_e32 v[156:157], v[158:159], v[156:157]
	v_mul_f64_e32 v[158:159], s[14:15], v[193:194]
	s_delay_alu instid0(VALU_DEP_2) | instskip(NEXT) | instid1(VALU_DEP_2)
	v_add_f64_e32 v[37:38], v[156:157], v[41:42]
	v_add_f64_e64 v[158:159], v[158:159], -v[160:161]
	v_mul_f64_e32 v[160:161], s[22:23], v[201:202]
	scratch_load_b64 v[201:202], off, off offset:1236 th:TH_LOAD_LU ; 8-byte Folded Reload
	v_add_f64_e32 v[41:42], v[158:159], v[43:44]
	v_mul_f64_e32 v[43:44], s[2:3], v[150:151]
	s_wait_loadcnt 0x3
	v_add_f64_e32 v[160:161], v[162:163], v[160:161]
	v_mul_f64_e32 v[162:163], s[22:23], v[193:194]
	scratch_load_b64 v[193:194], off, off offset:1496 th:TH_LOAD_LU ; 8-byte Folded Reload
	v_add_f64_e32 v[10:11], v[160:161], v[10:11]
	v_add_f64_e64 v[162:163], v[162:163], -v[166:167]
	v_mul_f64_e32 v[166:167], s[16:17], v[185:186]
	s_delay_alu instid0(VALU_DEP_2) | instskip(NEXT) | instid1(VALU_DEP_2)
	v_add_f64_e32 v[8:9], v[162:163], v[8:9]
	v_add_f64_e32 v[166:167], v[170:171], v[166:167]
	v_mul_f64_e32 v[170:171], s[16:17], v[168:169]
	s_delay_alu instid0(VALU_DEP_2) | instskip(NEXT) | instid1(VALU_DEP_2)
	v_add_f64_e32 v[20:21], v[166:167], v[22:23]
	v_add_f64_e64 v[170:171], v[170:171], -v[172:173]
	v_mul_f64_e32 v[172:173], s[24:25], v[185:186]
	s_delay_alu instid0(VALU_DEP_2) | instskip(NEXT) | instid1(VALU_DEP_2)
	v_add_f64_e32 v[22:23], v[170:171], v[24:25]
	v_add_f64_e32 v[172:173], v[175:176], v[172:173]
	v_mul_f64_e32 v[175:176], s[24:25], v[168:169]
	s_delay_alu instid0(VALU_DEP_2) | instskip(NEXT) | instid1(VALU_DEP_2)
	v_add_f64_e32 v[24:25], v[172:173], v[26:27]
	v_add_f64_e64 v[175:176], v[175:176], -v[177:178]
	v_mul_f64_e32 v[177:178], s[14:15], v[185:186]
	s_delay_alu instid0(VALU_DEP_2) | instskip(NEXT) | instid1(VALU_DEP_2)
	v_add_f64_e32 v[31:32], v[175:176], v[31:32]
	v_add_f64_e32 v[177:178], v[179:180], v[177:178]
	v_mul_f64_e32 v[179:180], s[14:15], v[168:169]
	s_delay_alu instid0(VALU_DEP_2) | instskip(SKIP_1) | instid1(VALU_DEP_2)
	v_add_f64_e32 v[26:27], v[177:178], v[29:30]
	s_wait_loadcnt 0x3
	v_add_f64_e64 v[179:180], v[179:180], -v[181:182]
	v_mul_f64_e32 v[181:182], s[8:9], v[185:186]
	s_delay_alu instid0(VALU_DEP_2) | instskip(NEXT) | instid1(VALU_DEP_2)
	v_add_f64_e32 v[35:36], v[179:180], v[35:36]
	v_add_f64_e32 v[181:182], v[183:184], v[181:182]
	v_mul_f64_e32 v[183:184], s[8:9], v[168:169]
	s_delay_alu instid0(VALU_DEP_2) | instskip(NEXT) | instid1(VALU_DEP_2)
	v_add_f64_e32 v[29:30], v[181:182], v[33:34]
	v_add_f64_e64 v[183:184], v[183:184], -v[187:188]
	v_mul_f64_e32 v[187:188], s[22:23], v[185:186]
	v_mul_f64_e32 v[185:186], s[18:19], v[185:186]
	s_delay_alu instid0(VALU_DEP_3) | instskip(SKIP_1) | instid1(VALU_DEP_3)
	v_add_f64_e32 v[39:40], v[183:184], v[39:40]
	s_wait_loadcnt 0x2
	v_add_f64_e32 v[187:188], v[189:190], v[187:188]
	v_mul_f64_e32 v[189:190], s[22:23], v[168:169]
	v_mul_f64_e32 v[168:169], s[18:19], v[168:169]
	s_delay_alu instid0(VALU_DEP_3) | instskip(NEXT) | instid1(VALU_DEP_3)
	v_add_f64_e32 v[33:34], v[187:188], v[37:38]
	v_add_f64_e64 v[189:190], v[189:190], -v[191:192]
	scratch_load_b64 v[191:192], off, off offset:584 th:TH_LOAD_LU ; 8-byte Folded Reload
	v_add_f64_e32 v[37:38], v[189:190], v[41:42]
	v_mul_f64_e32 v[41:42], s[2:3], v[134:135]
	s_wait_loadcnt 0x0
	v_add_f64_e32 v[185:186], v[191:192], v[185:186]
	scratch_load_b64 v[191:192], off, off offset:520 th:TH_LOAD_LU ; 8-byte Folded Reload
	v_add_f64_e32 v[10:11], v[185:186], v[10:11]
	s_wait_loadcnt 0x0
	v_add_f64_e64 v[168:169], v[168:169], -v[191:192]
	v_mul_f64_e32 v[191:192], s[16:17], v[164:165]
	s_delay_alu instid0(VALU_DEP_2) | instskip(NEXT) | instid1(VALU_DEP_2)
	v_add_f64_e32 v[8:9], v[168:169], v[8:9]
	v_add_f64_e32 v[191:192], v[193:194], v[191:192]
	v_mul_f64_e32 v[193:194], s[16:17], v[154:155]
	s_delay_alu instid0(VALU_DEP_2) | instskip(NEXT) | instid1(VALU_DEP_2)
	v_add_f64_e32 v[16:17], v[191:192], v[16:17]
	v_add_f64_e64 v[193:194], v[193:194], -v[195:196]
	v_mul_f64_e32 v[195:196], s[2:3], v[164:165]
	s_delay_alu instid0(VALU_DEP_2) | instskip(NEXT) | instid1(VALU_DEP_2)
	v_add_f64_e32 v[18:19], v[193:194], v[18:19]
	v_add_f64_e32 v[195:196], v[197:198], v[195:196]
	v_mul_f64_e32 v[197:198], s[2:3], v[154:155]
	s_delay_alu instid0(VALU_DEP_2) | instskip(NEXT) | instid1(VALU_DEP_2)
	v_add_f64_e32 v[20:21], v[195:196], v[20:21]
	;; [unrolled: 8-line block ×5, first 2 shown]
	v_add_f64_e64 v[209:210], v[209:210], -v[211:212]
	v_mul_f64_e32 v[211:212], s[20:21], v[164:165]
	v_mul_f64_e32 v[164:165], s[14:15], v[164:165]
	s_delay_alu instid0(VALU_DEP_3) | instskip(NEXT) | instid1(VALU_DEP_3)
	v_add_f64_e32 v[39:40], v[209:210], v[39:40]
	v_add_f64_e32 v[211:212], v[213:214], v[211:212]
	v_mul_f64_e32 v[213:214], s[20:21], v[154:155]
	v_mul_f64_e32 v[154:155], s[14:15], v[154:155]
	s_delay_alu instid0(VALU_DEP_3) | instskip(NEXT) | instid1(VALU_DEP_3)
	v_add_f64_e32 v[33:34], v[211:212], v[33:34]
	v_add_f64_e64 v[213:214], v[213:214], -v[215:216]
	scratch_load_b64 v[215:216], off, off offset:504 th:TH_LOAD_LU ; 8-byte Folded Reload
	v_add_f64_e32 v[37:38], v[213:214], v[37:38]
	s_wait_loadcnt 0x0
	v_add_f64_e32 v[164:165], v[215:216], v[164:165]
	scratch_load_b64 v[215:216], off, off offset:456 th:TH_LOAD_LU ; 8-byte Folded Reload
	s_wait_loadcnt 0x0
	v_add_f64_e64 v[154:155], v[154:155], -v[215:216]
	v_mul_f64_e32 v[215:216], s[22:23], v[150:151]
	s_delay_alu instid0(VALU_DEP_1) | instskip(SKIP_1) | instid1(VALU_DEP_2)
	v_add_f64_e32 v[215:216], v[217:218], v[215:216]
	v_mul_f64_e32 v[217:218], s[22:23], v[134:135]
	v_add_f64_e32 v[6:7], v[215:216], v[16:17]
	s_delay_alu instid0(VALU_DEP_2) | instskip(SKIP_1) | instid1(VALU_DEP_2)
	v_add_f64_e64 v[217:218], v[217:218], -v[219:220]
	v_mul_f64_e32 v[219:220], s[20:21], v[150:151]
	v_add_f64_e32 v[4:5], v[217:218], v[18:19]
	s_delay_alu instid0(VALU_DEP_2) | instskip(SKIP_1) | instid1(VALU_DEP_1)
	v_add_f64_e32 v[219:220], v[221:222], v[219:220]
	v_mul_f64_e32 v[221:222], s[20:21], v[134:135]
	v_add_f64_e64 v[221:222], v[221:222], -v[223:224]
	v_mul_f64_e32 v[223:224], s[18:19], v[150:151]
	s_delay_alu instid0(VALU_DEP_1) | instskip(SKIP_1) | instid1(VALU_DEP_2)
	v_add_f64_e32 v[223:224], v[225:226], v[223:224]
	v_mul_f64_e32 v[225:226], s[18:19], v[134:135]
	v_add_f64_e32 v[14:15], v[223:224], v[24:25]
	s_delay_alu instid0(VALU_DEP_2) | instskip(SKIP_2) | instid1(VALU_DEP_3)
	v_add_f64_e64 v[225:226], v[225:226], -v[227:228]
	v_mul_f64_e32 v[227:228], s[16:17], v[150:151]
	v_add_f64_e32 v[24:25], v[45:46], v[37:38]
	v_add_f64_e32 v[12:13], v[225:226], v[31:32]
	s_delay_alu instid0(VALU_DEP_3) | instskip(SKIP_1) | instid1(VALU_DEP_2)
	v_add_f64_e32 v[227:228], v[231:232], v[227:228]
	v_mul_f64_e32 v[231:232], s[16:17], v[134:135]
	v_add_f64_e32 v[18:19], v[227:228], v[26:27]
	s_delay_alu instid0(VALU_DEP_2) | instskip(SKIP_3) | instid1(VALU_DEP_2)
	v_add_f64_e64 v[231:232], v[231:232], -v[233:234]
	v_add_f64_e32 v[26:27], v[47:48], v[33:34]
	v_mul_u32_u24_e32 v33, 17, v28
	v_mul_f64_e32 v[233:234], s[14:15], v[150:151]
	v_lshl_add_u32 v33, v33, 4, v230
	v_add_f64_e32 v[16:17], v[231:232], v[35:36]
	scratch_load_b128 v[34:37], off, off offset:136 ; 16-byte Folded Reload
	s_wait_loadcnt 0x0
	ds_store_b128 v33, v[34:37] offset:128
	scratch_load_b128 v[34:37], off, off offset:152 ; 16-byte Folded Reload
	s_wait_loadcnt 0x0
	ds_store_b128 v33, v[34:37] offset:144
	;; [unrolled: 3-line block ×4, first 2 shown]
	scratch_load_b128 v[34:37], off, off offset:88 ; 16-byte Folded Reload
	v_add_f64_e32 v[233:234], v[235:236], v[233:234]
	s_wait_loadcnt 0x0
	ds_store_b128 v33, v[34:37] offset:192
	scratch_load_b128 v[34:37], off, off offset:72 ; 16-byte Folded Reload
	v_add_f64_e64 v[49:50], v[49:50], -v[59:60]
	s_wait_loadcnt 0x0
	ds_store_b128 v33, v[34:37] offset:208
	scratch_load_b128 v[34:37], off, off offset:56 ; 16-byte Folded Reload
	v_add_f64_e32 v[43:44], v[53:54], v[43:44]
	v_add_f64_e32 v[53:54], v[154:155], v[8:9]
	;; [unrolled: 1-line block ×4, first 2 shown]
	s_wait_loadcnt 0x0
	ds_store_b128 v33, v[34:37] offset:224
	scratch_load_b128 v[34:37], off, off offset:40 ; 16-byte Folded Reload
	v_add_f64_e64 v[41:42], v[41:42], -v[51:52]
	v_add_f64_e32 v[51:52], v[164:165], v[10:11]
	v_add_f64_e32 v[10:11], v[219:220], v[20:21]
	;; [unrolled: 1-line block ×3, first 2 shown]
	s_delay_alu instid0(VALU_DEP_4) | instskip(NEXT) | instid1(VALU_DEP_4)
	v_add_f64_e32 v[29:30], v[41:42], v[53:54]
	v_add_f64_e32 v[31:32], v[43:44], v[51:52]
	s_wait_loadcnt 0x0
	ds_store_b128 v33, v[34:37] offset:240
	ds_store_b128 v33, v[24:27] offset:32
	;; [unrolled: 1-line block ×8, first 2 shown]
	ds_store_b128 v33, v[0:3]
	scratch_load_b128 v[0:3], off, off offset:24 ; 16-byte Folded Reload
	s_wait_loadcnt 0x0
	ds_store_b128 v33, v[0:3] offset:256
.LBB0_7:
	s_wait_alu 0xfffe
	s_or_b32 exec_lo, exec_lo, s26
	scratch_load_b32 v72, off, off          ; 4-byte Folded Reload
	global_wb scope:SCOPE_SE
	s_wait_storecnt 0x0
	s_wait_loadcnt_dscnt 0x0
	s_barrier_signal -1
	s_barrier_wait -1
	global_inv scope:SCOPE_SE
	s_mov_b32 s14, 0x134454ff
	s_mov_b32 s15, 0x3fee6f0e
	s_mov_b32 s17, 0xbfee6f0e
	s_wait_alu 0xfffe
	s_mov_b32 s16, s14
	s_mov_b32 s2, 0x4755a5e
	;; [unrolled: 1-line block ×4, first 2 shown]
	s_wait_alu 0xfffe
	s_mov_b32 s8, s2
	s_mov_b32 s18, 0x372fe950
	;; [unrolled: 1-line block ×3, first 2 shown]
	v_lshlrev_b32_e32 v28, 6, v28
	v_lshlrev_b32_e32 v30, 6, v72
	v_add_co_u32 v29, null, v72, 34
	s_clause 0x3
	global_load_b128 v[100:103], v30, s[0:1]
	global_load_b128 v[88:91], v30, s[0:1] offset:16
	global_load_b128 v[84:87], v30, s[0:1] offset:32
	;; [unrolled: 1-line block ×3, first 2 shown]
	v_and_b32_e32 v0, 0xff, v29
	s_delay_alu instid0(VALU_DEP_1) | instskip(NEXT) | instid1(VALU_DEP_1)
	v_mul_lo_u16 v0, 0xf1, v0
	v_lshrrev_b16 v0, 12, v0
	s_delay_alu instid0(VALU_DEP_1) | instskip(NEXT) | instid1(VALU_DEP_1)
	v_mul_lo_u16 v0, v0, 17
	v_sub_nc_u16 v31, v29, v0
	s_delay_alu instid0(VALU_DEP_1) | instskip(NEXT) | instid1(VALU_DEP_1)
	v_lshlrev_b16 v0, 2, v31
	v_and_b32_e32 v0, 0xfc, v0
	s_delay_alu instid0(VALU_DEP_1)
	v_lshlrev_b32_e32 v0, 4, v0
	s_clause 0x3
	global_load_b128 v[120:123], v0, s[0:1]
	global_load_b128 v[116:119], v0, s[0:1] offset:16
	global_load_b128 v[112:115], v0, s[0:1] offset:32
	;; [unrolled: 1-line block ×3, first 2 shown]
	ds_load_b128 v[16:19], v229 offset:1360
	ds_load_b128 v[12:15], v229 offset:2720
	;; [unrolled: 1-line block ×12, first 2 shown]
	s_wait_loadcnt_dscnt 0x707
	v_mul_f64_e32 v[68:69], v[10:11], v[102:103]
	v_mul_f64_e32 v[70:71], v[8:9], v[102:103]
	s_wait_loadcnt 0x5
	v_mul_f64_e32 v[60:61], v[6:7], v[86:87]
	s_wait_loadcnt 0x4
	v_mul_f64_e32 v[64:65], v[2:3], v[82:83]
	v_mul_f64_e32 v[66:67], v[0:1], v[82:83]
	s_wait_dscnt 0x3
	v_mul_f64_e32 v[96:97], v[38:39], v[82:83]
	v_mul_f64_e32 v[98:99], v[36:37], v[82:83]
	v_mul_f64_e32 v[62:63], v[4:5], v[86:87]
	v_mul_f64_e32 v[52:53], v[18:19], v[102:103]
	v_mul_f64_e32 v[54:55], v[16:17], v[102:103]
	v_mul_f64_e32 v[56:57], v[14:15], v[90:91]
	v_mul_f64_e32 v[58:59], v[12:13], v[90:91]
	v_mul_f64_e32 v[76:77], v[22:23], v[90:91]
	v_mul_f64_e32 v[78:79], v[20:21], v[90:91]
	s_clause 0x3
	scratch_store_b128 off, v[100:103], off offset:520
	scratch_store_b128 off, v[88:91], off offset:504
	scratch_store_b128 off, v[84:87], off offset:488
	scratch_store_b128 off, v[80:83], off offset:456
	s_wait_dscnt 0x1
	v_mul_f64_e32 v[94:95], v[44:45], v[86:87]
	v_mul_f64_e32 v[92:93], v[46:47], v[86:87]
	v_fma_f64 v[60:61], v[4:5], v[84:85], -v[60:61]
	v_add_co_u32 v4, null, v72, 51
	v_fma_f64 v[64:65], v[0:1], v[80:81], -v[64:65]
	v_fma_f64 v[1:2], v[2:3], v[80:81], v[66:67]
	v_fma_f64 v[66:67], v[8:9], v[100:101], -v[68:69]
	s_delay_alu instid0(VALU_DEP_4)
	v_and_b32_e32 v0, 0xff, v4
	v_fma_f64 v[68:69], v[10:11], v[100:101], v[70:71]
	s_wait_loadcnt 0x3
	v_mul_f64_e32 v[9:10], v[42:43], v[122:123]
	v_mul_f64_e32 v[70:71], v[40:41], v[122:123]
	v_fma_f64 v[96:97], v[36:37], v[80:81], -v[96:97]
	v_fma_f64 v[98:99], v[38:39], v[80:81], v[98:99]
	s_wait_loadcnt_dscnt 0x100
	v_mul_f64_e32 v[36:37], v[50:51], v[114:115]
	v_mul_f64_e32 v[38:39], v[48:49], v[114:115]
	v_mul_lo_u16 v0, 0xf1, v0
	s_clause 0x2
	scratch_store_b128 off, v[120:123], off offset:600
	scratch_store_b128 off, v[116:119], off offset:584
	;; [unrolled: 1-line block ×3, first 2 shown]
	s_wait_loadcnt 0x0
	scratch_store_b128 off, v[108:111], off offset:552 ; 16-byte Folded Spill
	v_lshrrev_b16 v0, 12, v0
	v_fma_f64 v[52:53], v[16:17], v[100:101], -v[52:53]
	v_fma_f64 v[54:55], v[18:19], v[100:101], v[54:55]
	v_fma_f64 v[56:57], v[12:13], v[88:89], -v[56:57]
	v_fma_f64 v[58:59], v[14:15], v[88:89], v[58:59]
	v_mul_lo_u16 v0, v0, 17
	ds_load_b128 v[12:15], v229 offset:3264
	ds_load_b128 v[16:19], v229 offset:3536
	v_fma_f64 v[62:63], v[6:7], v[84:85], v[62:63]
	v_fma_f64 v[76:77], v[20:21], v[88:89], -v[76:77]
	v_sub_nc_u16 v0, v4, v0
	v_fma_f64 v[78:79], v[22:23], v[88:89], v[78:79]
	ds_load_b128 v[5:8], v229 offset:5984
	ds_load_b128 v[20:23], v229 offset:6256
	v_fma_f64 v[94:95], v[46:47], v[84:85], v[94:95]
	v_lshlrev_b16 v3, 2, v0
	v_fma_f64 v[92:93], v[44:45], v[84:85], -v[92:93]
	v_and_b32_e32 v0, 0xff, v0
	v_lshlrev_b32_e32 v4, 6, v4
	s_delay_alu instid0(VALU_DEP_4) | instskip(NEXT) | instid1(VALU_DEP_1)
	v_and_b32_e32 v3, 0xfc, v3
	v_lshlrev_b32_e32 v3, 4, v3
	s_wait_dscnt 0x3
	v_mul_f64_e32 v[100:101], v[14:15], v[118:119]
	v_fma_f64 v[104:105], v[40:41], v[120:121], -v[9:10]
	v_fma_f64 v[70:71], v[42:43], v[120:121], v[70:71]
	v_mul_f64_e32 v[102:103], v[12:13], v[118:119]
	v_fma_f64 v[106:107], v[48:49], v[112:113], -v[36:37]
	v_fma_f64 v[112:113], v[50:51], v[112:113], v[38:39]
	s_clause 0x1
	global_load_b128 v[40:43], v3, s[0:1]
	global_load_b128 v[36:39], v3, s[0:1] offset:16
	s_wait_dscnt 0x1
	v_mul_f64_e32 v[9:10], v[7:8], v[110:111]
	v_add_f64_e64 v[48:49], v[60:61], -v[64:65]
	v_add_f64_e64 v[44:45], v[56:57], -v[52:53]
	;; [unrolled: 1-line block ×3, first 2 shown]
	v_fma_f64 v[100:101], v[12:13], v[116:117], -v[100:101]
	v_mul_f64_e32 v[11:12], v[5:6], v[110:111]
	v_fma_f64 v[102:103], v[14:15], v[116:117], v[102:103]
	v_fma_f64 v[114:115], v[5:6], v[108:109], -v[9:10]
	s_delay_alu instid0(VALU_DEP_3)
	v_fma_f64 v[116:117], v[7:8], v[108:109], v[11:12]
	ds_load_b128 v[5:8], v229 offset:2176
	ds_load_b128 v[9:12], v229 offset:2448
	s_wait_loadcnt_dscnt 0x101
	v_mul_f64_e32 v[13:14], v[7:8], v[42:43]
	scratch_store_b128 off, v[40:43], off offset:960 ; 16-byte Folded Spill
	s_wait_loadcnt 0x0
	scratch_store_b128 off, v[36:39], off offset:928 ; 16-byte Folded Spill
	v_fma_f64 v[118:119], v[5:6], v[40:41], -v[13:14]
	v_mul_f64_e32 v[5:6], v[5:6], v[42:43]
	s_delay_alu instid0(VALU_DEP_1) | instskip(SKIP_1) | instid1(VALU_DEP_1)
	v_fma_f64 v[120:121], v[7:8], v[40:41], v[5:6]
	v_mul_f64_e32 v[5:6], v[18:19], v[38:39]
	v_fma_f64 v[122:123], v[16:17], v[36:37], -v[5:6]
	v_mul_f64_e32 v[5:6], v[16:17], v[38:39]
	s_delay_alu instid0(VALU_DEP_1)
	v_fma_f64 v[124:125], v[18:19], v[36:37], v[5:6]
	s_clause 0x1
	global_load_b128 v[40:43], v3, s[0:1] offset:32
	global_load_b128 v[36:39], v3, s[0:1] offset:48
	ds_load_b128 v[5:8], v229 offset:4896
	ds_load_b128 v[13:16], v229 offset:5168
	s_wait_loadcnt_dscnt 0x101
	v_mul_f64_e32 v[17:18], v[7:8], v[42:43]
	scratch_store_b128 off, v[40:43], off offset:976 ; 16-byte Folded Spill
	s_wait_loadcnt 0x0
	scratch_store_b128 off, v[36:39], off offset:944 ; 16-byte Folded Spill
	v_fma_f64 v[126:127], v[5:6], v[40:41], -v[17:18]
	v_mul_f64_e32 v[5:6], v[5:6], v[42:43]
	v_add_f64_e64 v[42:43], v[56:57], -v[60:61]
	s_delay_alu instid0(VALU_DEP_2) | instskip(SKIP_2) | instid1(VALU_DEP_2)
	v_fma_f64 v[128:129], v[7:8], v[40:41], v[5:6]
	v_mul_f64_e32 v[5:6], v[22:23], v[38:39]
	v_add_f64_e64 v[40:41], v[52:53], -v[64:65]
	v_fma_f64 v[130:131], v[20:21], v[36:37], -v[5:6]
	v_mul_f64_e32 v[5:6], v[20:21], v[38:39]
	s_delay_alu instid0(VALU_DEP_1) | instskip(SKIP_1) | instid1(VALU_DEP_1)
	v_fma_f64 v[22:23], v[22:23], v[36:37], v[5:6]
	v_add_co_u32 v5, null, 0x44, v72
	v_and_b32_e32 v3, 0xff, v5
	s_delay_alu instid0(VALU_DEP_1) | instskip(NEXT) | instid1(VALU_DEP_1)
	v_mul_lo_u16 v3, 0xf1, v3
	v_lshrrev_b16 v3, 12, v3
	s_delay_alu instid0(VALU_DEP_1) | instskip(NEXT) | instid1(VALU_DEP_1)
	v_mul_lo_u16 v3, v3, 17
	v_sub_nc_u16 v3, v5, v3
	s_delay_alu instid0(VALU_DEP_1) | instskip(NEXT) | instid1(VALU_DEP_1)
	v_lshlrev_b16 v6, 2, v3
	v_and_b32_e32 v6, 0xfc, v6
	s_delay_alu instid0(VALU_DEP_1)
	v_lshlrev_b32_e32 v8, 4, v6
	s_clause 0x1
	global_load_b128 v[36:39], v8, s[0:1]
	global_load_b128 v[17:20], v8, s[0:1] offset:16
	s_wait_loadcnt 0x1
	v_mul_f64_e32 v[6:7], v[11:12], v[38:39]
	scratch_store_b128 off, v[36:39], off offset:1024 ; 16-byte Folded Spill
	s_wait_loadcnt 0x0
	scratch_store_b128 off, v[17:20], off offset:992 ; 16-byte Folded Spill
	v_fma_f64 v[132:133], v[9:10], v[36:37], -v[6:7]
	v_mul_f64_e32 v[6:7], v[9:10], v[38:39]
	v_add_f64_e64 v[38:39], v[58:59], -v[62:63]
	s_delay_alu instid0(VALU_DEP_2)
	v_fma_f64 v[134:135], v[11:12], v[36:37], v[6:7]
	s_clause 0x1
	global_load_b128 v[9:12], v8, s[0:1] offset:32
	global_load_b128 v[80:83], v8, s[0:1] offset:48
	v_mul_f64_e32 v[6:7], v[34:35], v[19:20]
	v_add_f64_e64 v[36:37], v[54:55], -v[1:2]
	s_delay_alu instid0(VALU_DEP_2) | instskip(SKIP_1) | instid1(VALU_DEP_1)
	v_fma_f64 v[136:137], v[32:33], v[17:18], -v[6:7]
	v_mul_f64_e32 v[6:7], v[32:33], v[19:20]
	v_fma_f64 v[138:139], v[34:35], v[17:18], v[6:7]
	s_wait_loadcnt_dscnt 0x100
	v_mul_f64_e32 v[6:7], v[15:16], v[11:12]
	scratch_store_b128 off, v[9:12], off offset:1040 ; 16-byte Folded Spill
	v_fma_f64 v[140:141], v[13:14], v[9:10], -v[6:7]
	v_mul_f64_e32 v[6:7], v[13:14], v[11:12]
	s_delay_alu instid0(VALU_DEP_1) | instskip(SKIP_3) | instid1(VALU_DEP_2)
	v_fma_f64 v[142:143], v[15:16], v[9:10], v[6:7]
	v_add_f64_e64 v[6:7], v[52:53], -v[56:57]
	v_add_f64_e64 v[8:9], v[64:65], -v[60:61]
	v_add_f64_e32 v[14:15], v[56:57], v[60:61]
	v_add_f64_e32 v[18:19], v[6:7], v[8:9]
	v_add_f64_e64 v[6:7], v[54:55], -v[58:59]
	v_add_f64_e64 v[8:9], v[1:2], -v[62:63]
	s_delay_alu instid0(VALU_DEP_1)
	v_add_f64_e32 v[20:21], v[6:7], v[8:9]
	ds_load_b128 v[6:9], v229
	ds_load_b128 v[10:13], v229 offset:272
	s_wait_loadcnt 0x0
	scratch_store_b128 off, v[80:83], off offset:1008 ; 16-byte Folded Spill
	s_wait_dscnt 0x1
	v_fma_f64 v[32:33], v[14:15], -0.5, v[6:7]
	v_add_f64_e32 v[14:15], v[58:59], v[62:63]
	s_delay_alu instid0(VALU_DEP_1) | instskip(NEXT) | instid1(VALU_DEP_3)
	v_fma_f64 v[34:35], v[14:15], -0.5, v[8:9]
	v_fma_f64 v[14:15], v[36:37], s[14:15], v[32:33]
	v_fma_f64 v[32:33], v[36:37], s[16:17], v[32:33]
	s_delay_alu instid0(VALU_DEP_3) | instskip(SKIP_1) | instid1(VALU_DEP_4)
	v_fma_f64 v[16:17], v[40:41], s[16:17], v[34:35]
	v_fma_f64 v[34:35], v[40:41], s[14:15], v[34:35]
	;; [unrolled: 1-line block ×3, first 2 shown]
	s_wait_alu 0xfffe
	s_delay_alu instid0(VALU_DEP_4) | instskip(NEXT) | instid1(VALU_DEP_4)
	v_fma_f64 v[32:33], v[38:39], s[8:9], v[32:33]
	v_fma_f64 v[16:17], v[42:43], s[8:9], v[16:17]
	s_delay_alu instid0(VALU_DEP_4) | instskip(NEXT) | instid1(VALU_DEP_4)
	v_fma_f64 v[34:35], v[42:43], s[2:3], v[34:35]
	v_fma_f64 v[14:15], v[18:19], s[18:19], v[14:15]
	s_delay_alu instid0(VALU_DEP_4) | instskip(SKIP_4) | instid1(VALU_DEP_4)
	v_fma_f64 v[18:19], v[18:19], s[18:19], v[32:33]
	v_add_f64_e32 v[32:33], v[52:53], v[64:65]
	v_fma_f64 v[16:17], v[20:21], s[18:19], v[16:17]
	v_fma_f64 v[20:21], v[20:21], s[18:19], v[34:35]
	v_add_f64_e32 v[34:35], v[54:55], v[1:2]
	v_fma_f64 v[32:33], v[32:33], -0.5, v[6:7]
	v_add_f64_e32 v[6:7], v[6:7], v[52:53]
	v_add_f64_e64 v[52:53], v[78:79], -v[94:95]
	s_delay_alu instid0(VALU_DEP_4)
	v_fma_f64 v[34:35], v[34:35], -0.5, v[8:9]
	v_add_f64_e32 v[8:9], v[8:9], v[54:55]
	v_fma_f64 v[50:51], v[38:39], s[16:17], v[32:33]
	v_fma_f64 v[32:33], v[38:39], s[14:15], v[32:33]
	v_add_f64_e64 v[54:55], v[66:67], -v[96:97]
	v_add_f64_e32 v[6:7], v[6:7], v[56:57]
	v_add_f64_e64 v[56:57], v[76:77], -v[92:93]
	v_fma_f64 v[38:39], v[42:43], s[14:15], v[34:35]
	v_add_f64_e32 v[8:9], v[8:9], v[58:59]
	v_fma_f64 v[34:35], v[42:43], s[16:17], v[34:35]
	v_add_f64_e32 v[42:43], v[44:45], v[48:49]
	v_fma_f64 v[44:45], v[36:37], s[2:3], v[50:51]
	v_fma_f64 v[36:37], v[36:37], s[8:9], v[32:33]
	v_add_f64_e64 v[50:51], v[68:69], -v[98:99]
	v_add_f64_e32 v[6:7], v[6:7], v[60:61]
	v_add_f64_e64 v[58:59], v[76:77], -v[66:67]
	v_add_f64_e64 v[60:61], v[78:79], -v[68:69]
	v_fma_f64 v[38:39], v[40:41], s[8:9], v[38:39]
	v_add_f64_e32 v[8:9], v[8:9], v[62:63]
	v_fma_f64 v[40:41], v[40:41], s[2:3], v[34:35]
	v_fma_f64 v[32:33], v[42:43], s[18:19], v[44:45]
	;; [unrolled: 1-line block ×3, first 2 shown]
	v_add_f64_e64 v[42:43], v[98:99], -v[94:95]
	v_add_f64_e32 v[6:7], v[6:7], v[64:65]
	v_add_f64_e64 v[64:65], v[94:95], -v[98:99]
	v_add_f64_e32 v[8:9], v[8:9], v[1:2]
	v_add_f64_e64 v[1:2], v[62:63], -v[1:2]
	v_add_f64_e64 v[62:63], v[92:93], -v[96:97]
	s_delay_alu instid0(VALU_DEP_2) | instskip(NEXT) | instid1(VALU_DEP_1)
	v_add_f64_e32 v[1:2], v[46:47], v[1:2]
	v_fma_f64 v[34:35], v[1:2], s[18:19], v[38:39]
	v_fma_f64 v[38:39], v[1:2], s[18:19], v[40:41]
	v_add_f64_e64 v[1:2], v[66:67], -v[76:77]
	v_add_f64_e64 v[40:41], v[96:97], -v[92:93]
	s_delay_alu instid0(VALU_DEP_1) | instskip(SKIP_1) | instid1(VALU_DEP_1)
	v_add_f64_e32 v[1:2], v[1:2], v[40:41]
	v_add_f64_e64 v[40:41], v[68:69], -v[78:79]
	v_add_f64_e32 v[46:47], v[40:41], v[42:43]
	v_add_f64_e32 v[40:41], v[76:77], v[92:93]
	s_wait_dscnt 0x0
	s_delay_alu instid0(VALU_DEP_1) | instskip(SKIP_1) | instid1(VALU_DEP_1)
	v_fma_f64 v[44:45], v[40:41], -0.5, v[10:11]
	v_add_f64_e32 v[40:41], v[78:79], v[94:95]
	v_fma_f64 v[48:49], v[40:41], -0.5, v[12:13]
	s_delay_alu instid0(VALU_DEP_3) | instskip(SKIP_1) | instid1(VALU_DEP_3)
	v_fma_f64 v[40:41], v[50:51], s[14:15], v[44:45]
	v_fma_f64 v[44:45], v[50:51], s[16:17], v[44:45]
	;; [unrolled: 1-line block ×4, first 2 shown]
	s_delay_alu instid0(VALU_DEP_4) | instskip(NEXT) | instid1(VALU_DEP_4)
	v_fma_f64 v[40:41], v[52:53], s[2:3], v[40:41]
	v_fma_f64 v[44:45], v[52:53], s[8:9], v[44:45]
	s_delay_alu instid0(VALU_DEP_4) | instskip(NEXT) | instid1(VALU_DEP_4)
	v_fma_f64 v[42:43], v[56:57], s[8:9], v[42:43]
	v_fma_f64 v[48:49], v[56:57], s[2:3], v[48:49]
	;; [unrolled: 3-line block ×3, first 2 shown]
	v_add_f64_e32 v[1:2], v[66:67], v[96:97]
	v_fma_f64 v[42:43], v[46:47], s[18:19], v[42:43]
	v_fma_f64 v[46:47], v[46:47], s[18:19], v[48:49]
	v_add_f64_e32 v[48:49], v[68:69], v[98:99]
	s_delay_alu instid0(VALU_DEP_4) | instskip(SKIP_1) | instid1(VALU_DEP_3)
	v_fma_f64 v[1:2], v[1:2], -0.5, v[10:11]
	v_add_f64_e32 v[10:11], v[10:11], v[66:67]
	v_fma_f64 v[48:49], v[48:49], -0.5, v[12:13]
	v_add_f64_e32 v[12:13], v[12:13], v[68:69]
	s_delay_alu instid0(VALU_DEP_4)
	v_fma_f64 v[66:67], v[52:53], s[16:17], v[1:2]
	v_fma_f64 v[1:2], v[52:53], s[14:15], v[1:2]
	v_add_f64_e32 v[10:11], v[10:11], v[76:77]
	v_add_f64_e64 v[76:77], v[136:137], -v[140:141]
	v_fma_f64 v[52:53], v[56:57], s[14:15], v[48:49]
	v_fma_f64 v[48:49], v[56:57], s[16:17], v[48:49]
	v_add_f64_e32 v[56:57], v[58:59], v[62:63]
	v_add_f64_e32 v[58:59], v[60:61], v[64:65]
	v_fma_f64 v[60:61], v[50:51], s[2:3], v[66:67]
	v_fma_f64 v[1:2], v[50:51], s[8:9], v[1:2]
	v_add_f64_e32 v[12:13], v[12:13], v[78:79]
	v_add_f64_e32 v[10:11], v[10:11], v[92:93]
	v_add_f64_e64 v[66:67], v[126:127], -v[130:131]
	v_fma_f64 v[50:51], v[54:55], s[8:9], v[52:53]
	v_fma_f64 v[54:55], v[54:55], s[2:3], v[48:49]
	;; [unrolled: 1-line block ×4, first 2 shown]
	v_add_f64_e32 v[12:13], v[12:13], v[94:95]
	v_add_f64_e32 v[10:11], v[10:11], v[96:97]
	v_add_f64_e64 v[94:95], v[134:135], -v[138:139]
	v_fma_f64 v[50:51], v[58:59], s[18:19], v[50:51]
	v_fma_f64 v[54:55], v[58:59], s[18:19], v[54:55]
	ds_load_b128 v[56:59], v229 offset:6528
	v_add_f64_e32 v[12:13], v[12:13], v[98:99]
	s_wait_dscnt 0x0
	v_mul_f64_e32 v[1:2], v[58:59], v[82:83]
	s_delay_alu instid0(VALU_DEP_1) | instskip(SKIP_1) | instid1(VALU_DEP_2)
	v_fma_f64 v[1:2], v[56:57], v[80:81], -v[1:2]
	v_mul_f64_e32 v[56:57], v[56:57], v[82:83]
	v_add_f64_e64 v[78:79], v[132:133], -v[1:2]
	s_delay_alu instid0(VALU_DEP_2)
	v_fma_f64 v[64:65], v[58:59], v[80:81], v[56:57]
	ds_load_b128 v[56:59], v229 offset:544
	ds_load_b128 v[60:63], v229 offset:816
	global_wb scope:SCOPE_SE
	s_wait_storecnt_dscnt 0x0
	s_barrier_signal -1
	s_barrier_wait -1
	global_inv scope:SCOPE_SE
	ds_store_b128 v229, v[6:9]
	ds_store_b128 v229, v[14:17] offset:272
	ds_store_b128 v229, v[32:35] offset:544
	;; [unrolled: 1-line block ×9, first 2 shown]
	v_add_f64_e64 v[6:7], v[104:105], -v[100:101]
	v_add_f64_e64 v[8:9], v[114:115], -v[106:107]
	;; [unrolled: 1-line block ×14, first 2 shown]
	v_add_f64_e32 v[10:11], v[6:7], v[8:9]
	v_add_f64_e64 v[6:7], v[70:71], -v[102:103]
	v_add_f64_e64 v[8:9], v[116:117], -v[112:113]
	s_delay_alu instid0(VALU_DEP_1) | instskip(SKIP_1) | instid1(VALU_DEP_1)
	v_add_f64_e32 v[12:13], v[6:7], v[8:9]
	v_add_f64_e32 v[6:7], v[100:101], v[106:107]
	v_fma_f64 v[14:15], v[6:7], -0.5, v[56:57]
	v_add_f64_e32 v[6:7], v[102:103], v[112:113]
	s_delay_alu instid0(VALU_DEP_1) | instskip(NEXT) | instid1(VALU_DEP_3)
	v_fma_f64 v[16:17], v[6:7], -0.5, v[58:59]
	v_fma_f64 v[6:7], v[18:19], s[14:15], v[14:15]
	v_fma_f64 v[14:15], v[18:19], s[16:17], v[14:15]
	s_delay_alu instid0(VALU_DEP_3) | instskip(NEXT) | instid1(VALU_DEP_3)
	v_fma_f64 v[8:9], v[32:33], s[16:17], v[16:17]
	v_fma_f64 v[6:7], v[20:21], s[2:3], v[6:7]
	s_delay_alu instid0(VALU_DEP_3) | instskip(SKIP_1) | instid1(VALU_DEP_4)
	v_fma_f64 v[14:15], v[20:21], s[8:9], v[14:15]
	v_fma_f64 v[16:17], v[32:33], s[14:15], v[16:17]
	;; [unrolled: 1-line block ×3, first 2 shown]
	s_delay_alu instid0(VALU_DEP_4) | instskip(NEXT) | instid1(VALU_DEP_4)
	v_fma_f64 v[6:7], v[10:11], s[18:19], v[6:7]
	v_fma_f64 v[10:11], v[10:11], s[18:19], v[14:15]
	v_add_f64_e32 v[14:15], v[104:105], v[114:115]
	v_fma_f64 v[16:17], v[34:35], s[2:3], v[16:17]
	v_fma_f64 v[8:9], v[12:13], s[18:19], v[8:9]
	s_delay_alu instid0(VALU_DEP_3) | instskip(SKIP_1) | instid1(VALU_DEP_4)
	v_fma_f64 v[36:37], v[14:15], -0.5, v[56:57]
	v_add_f64_e32 v[14:15], v[70:71], v[116:117]
	v_fma_f64 v[12:13], v[12:13], s[18:19], v[16:17]
	v_add_f64_e32 v[16:17], v[58:59], v[70:71]
	v_add_f64_e64 v[70:71], v[134:135], -v[64:65]
	v_fma_f64 v[48:49], v[20:21], s[16:17], v[36:37]
	v_fma_f64 v[38:39], v[14:15], -0.5, v[58:59]
	v_fma_f64 v[20:21], v[20:21], s[14:15], v[36:37]
	v_add_f64_e32 v[14:15], v[56:57], v[104:105]
	v_add_f64_e32 v[16:17], v[16:17], v[102:103]
	s_delay_alu instid0(VALU_DEP_4)
	v_fma_f64 v[36:37], v[34:35], s[14:15], v[38:39]
	v_fma_f64 v[34:35], v[34:35], s[16:17], v[38:39]
	v_add_f64_e32 v[38:39], v[40:41], v[44:45]
	v_add_f64_e32 v[40:41], v[42:43], v[46:47]
	v_fma_f64 v[42:43], v[18:19], s[2:3], v[48:49]
	v_fma_f64 v[44:45], v[18:19], s[8:9], v[20:21]
	v_add_f64_e64 v[48:49], v[120:121], -v[22:23]
	v_add_f64_e32 v[14:15], v[14:15], v[100:101]
	v_add_f64_e32 v[16:17], v[16:17], v[112:113]
	v_fma_f64 v[20:21], v[32:33], s[8:9], v[36:37]
	v_fma_f64 v[34:35], v[32:33], s[2:3], v[34:35]
	v_add_f64_e64 v[36:37], v[118:119], -v[122:123]
	v_fma_f64 v[18:19], v[38:39], s[18:19], v[42:43]
	v_fma_f64 v[32:33], v[38:39], s[18:19], v[44:45]
	v_add_f64_e64 v[38:39], v[130:131], -v[126:127]
	v_add_f64_e32 v[14:15], v[14:15], v[106:107]
	v_add_f64_e32 v[16:17], v[16:17], v[116:117]
	v_fma_f64 v[20:21], v[40:41], s[18:19], v[20:21]
	v_fma_f64 v[34:35], v[40:41], s[18:19], v[34:35]
	v_add_f64_e32 v[40:41], v[36:37], v[38:39]
	v_add_f64_e64 v[36:37], v[120:121], -v[124:125]
	v_add_f64_e64 v[38:39], v[22:23], -v[128:129]
	v_add_f64_e32 v[14:15], v[14:15], v[114:115]
	s_delay_alu instid0(VALU_DEP_2) | instskip(SKIP_1) | instid1(VALU_DEP_1)
	v_add_f64_e32 v[42:43], v[36:37], v[38:39]
	v_add_f64_e32 v[36:37], v[122:123], v[126:127]
	v_fma_f64 v[44:45], v[36:37], -0.5, v[60:61]
	v_add_f64_e32 v[36:37], v[124:125], v[128:129]
	s_delay_alu instid0(VALU_DEP_1) | instskip(NEXT) | instid1(VALU_DEP_3)
	v_fma_f64 v[46:47], v[36:37], -0.5, v[62:63]
	v_fma_f64 v[36:37], v[48:49], s[14:15], v[44:45]
	v_fma_f64 v[44:45], v[48:49], s[16:17], v[44:45]
	s_delay_alu instid0(VALU_DEP_3) | instskip(SKIP_1) | instid1(VALU_DEP_4)
	v_fma_f64 v[38:39], v[52:53], s[16:17], v[46:47]
	v_fma_f64 v[46:47], v[52:53], s[14:15], v[46:47]
	;; [unrolled: 1-line block ×3, first 2 shown]
	s_delay_alu instid0(VALU_DEP_4) | instskip(NEXT) | instid1(VALU_DEP_4)
	v_fma_f64 v[44:45], v[50:51], s[8:9], v[44:45]
	v_fma_f64 v[38:39], v[54:55], s[8:9], v[38:39]
	s_delay_alu instid0(VALU_DEP_4) | instskip(NEXT) | instid1(VALU_DEP_4)
	v_fma_f64 v[46:47], v[54:55], s[2:3], v[46:47]
	v_fma_f64 v[36:37], v[40:41], s[18:19], v[36:37]
	s_delay_alu instid0(VALU_DEP_4) | instskip(SKIP_4) | instid1(VALU_DEP_4)
	v_fma_f64 v[40:41], v[40:41], s[18:19], v[44:45]
	v_add_f64_e32 v[44:45], v[118:119], v[130:131]
	v_fma_f64 v[38:39], v[42:43], s[18:19], v[38:39]
	v_fma_f64 v[42:43], v[42:43], s[18:19], v[46:47]
	v_add_f64_e32 v[46:47], v[62:63], v[120:121]
	v_fma_f64 v[56:57], v[44:45], -0.5, v[60:61]
	v_add_f64_e32 v[44:45], v[120:121], v[22:23]
	s_delay_alu instid0(VALU_DEP_3) | instskip(NEXT) | instid1(VALU_DEP_3)
	v_add_f64_e32 v[46:47], v[46:47], v[124:125]
	v_fma_f64 v[68:69], v[50:51], s[16:17], v[56:57]
	s_delay_alu instid0(VALU_DEP_3)
	v_fma_f64 v[58:59], v[44:45], -0.5, v[62:63]
	v_add_f64_e64 v[62:63], v[124:125], -v[120:121]
	v_fma_f64 v[50:51], v[50:51], s[14:15], v[56:57]
	v_add_f64_e32 v[44:45], v[60:61], v[118:119]
	v_add_f64_e64 v[60:61], v[122:123], -v[118:119]
	v_add_f64_e32 v[46:47], v[46:47], v[128:129]
	v_fma_f64 v[56:57], v[54:55], s[14:15], v[58:59]
	v_fma_f64 v[54:55], v[54:55], s[16:17], v[58:59]
	v_add_f64_e32 v[44:45], v[44:45], v[122:123]
	v_add_f64_e32 v[58:59], v[60:61], v[66:67]
	v_fma_f64 v[60:61], v[48:49], s[2:3], v[68:69]
	v_add_f64_e64 v[68:69], v[138:139], -v[142:143]
	v_add_f64_e32 v[46:47], v[46:47], v[22:23]
	v_add_f64_e64 v[22:23], v[128:129], -v[22:23]
	v_fma_f64 v[54:55], v[52:53], s[2:3], v[54:55]
	v_add_f64_e32 v[44:45], v[44:45], v[126:127]
	s_delay_alu instid0(VALU_DEP_3)
	v_add_f64_e32 v[22:23], v[62:63], v[22:23]
	v_fma_f64 v[62:63], v[48:49], s[8:9], v[50:51]
	v_fma_f64 v[50:51], v[52:53], s[8:9], v[56:57]
	v_add_f64_e64 v[56:57], v[140:141], -v[1:2]
	v_fma_f64 v[48:49], v[58:59], s[18:19], v[60:61]
	v_add_f64_e32 v[44:45], v[44:45], v[130:131]
	v_fma_f64 v[54:55], v[22:23], s[18:19], v[54:55]
	v_fma_f64 v[52:53], v[58:59], s[18:19], v[62:63]
	;; [unrolled: 1-line block ×3, first 2 shown]
	v_add_f64_e64 v[22:23], v[136:137], -v[132:133]
	v_add_f64_e64 v[58:59], v[142:143], -v[64:65]
	s_delay_alu instid0(VALU_DEP_2) | instskip(SKIP_1) | instid1(VALU_DEP_1)
	v_add_f64_e32 v[22:23], v[22:23], v[56:57]
	v_add_f64_e64 v[56:57], v[138:139], -v[134:135]
	v_add_f64_e32 v[62:63], v[56:57], v[58:59]
	v_add_f64_e32 v[56:57], v[132:133], v[1:2]
	s_delay_alu instid0(VALU_DEP_1) | instskip(SKIP_1) | instid1(VALU_DEP_1)
	v_fma_f64 v[60:61], v[56:57], -0.5, v[24:25]
	v_add_f64_e32 v[56:57], v[134:135], v[64:65]
	v_fma_f64 v[66:67], v[56:57], -0.5, v[26:27]
	s_delay_alu instid0(VALU_DEP_3) | instskip(SKIP_1) | instid1(VALU_DEP_3)
	v_fma_f64 v[56:57], v[68:69], s[16:17], v[60:61]
	v_fma_f64 v[60:61], v[68:69], s[14:15], v[60:61]
	;; [unrolled: 1-line block ×3, first 2 shown]
	s_delay_alu instid0(VALU_DEP_3) | instskip(SKIP_1) | instid1(VALU_DEP_4)
	v_fma_f64 v[56:57], v[70:71], s[2:3], v[56:57]
	v_fma_f64 v[66:67], v[76:77], s[16:17], v[66:67]
	v_fma_f64 v[60:61], v[70:71], s[8:9], v[60:61]
	s_delay_alu instid0(VALU_DEP_4) | instskip(NEXT) | instid1(VALU_DEP_4)
	v_fma_f64 v[58:59], v[78:79], s[8:9], v[58:59]
	v_fma_f64 v[56:57], v[22:23], s[18:19], v[56:57]
	s_delay_alu instid0(VALU_DEP_4) | instskip(NEXT) | instid1(VALU_DEP_4)
	v_fma_f64 v[66:67], v[78:79], s[2:3], v[66:67]
	v_fma_f64 v[60:61], v[22:23], s[18:19], v[60:61]
	v_add_f64_e32 v[22:23], v[136:137], v[140:141]
	v_fma_f64 v[58:59], v[62:63], s[18:19], v[58:59]
	s_delay_alu instid0(VALU_DEP_4) | instskip(NEXT) | instid1(VALU_DEP_3)
	v_fma_f64 v[62:63], v[62:63], s[18:19], v[66:67]
	v_fma_f64 v[66:67], v[22:23], -0.5, v[24:25]
	v_add_f64_e32 v[22:23], v[138:139], v[142:143]
	s_delay_alu instid0(VALU_DEP_1) | instskip(SKIP_3) | instid1(VALU_DEP_3)
	v_fma_f64 v[92:93], v[22:23], -0.5, v[26:27]
	v_add_f64_e32 v[22:23], v[24:25], v[132:133]
	v_add_f64_e32 v[24:25], v[26:27], v[134:135]
	v_add_f64_e64 v[26:27], v[132:133], -v[136:137]
	v_add_f64_e32 v[22:23], v[22:23], v[136:137]
	s_delay_alu instid0(VALU_DEP_3) | instskip(NEXT) | instid1(VALU_DEP_3)
	v_add_f64_e32 v[24:25], v[24:25], v[138:139]
	v_add_f64_e32 v[26:27], v[26:27], v[96:97]
	s_delay_alu instid0(VALU_DEP_3) | instskip(NEXT) | instid1(VALU_DEP_3)
	v_add_f64_e32 v[22:23], v[22:23], v[140:141]
	v_add_f64_e32 v[24:25], v[24:25], v[142:143]
	s_delay_alu instid0(VALU_DEP_2) | instskip(NEXT) | instid1(VALU_DEP_2)
	v_add_f64_e32 v[22:23], v[22:23], v[1:2]
	v_add_f64_e32 v[24:25], v[24:25], v[64:65]
	v_add_f64_e64 v[1:2], v[64:65], -v[142:143]
	v_fma_f64 v[64:65], v[70:71], s[14:15], v[66:67]
	v_fma_f64 v[66:67], v[70:71], s[16:17], v[66:67]
	;; [unrolled: 1-line block ×4, first 2 shown]
	v_add_f64_e32 v[1:2], v[94:95], v[1:2]
	v_fma_f64 v[64:65], v[68:69], s[2:3], v[64:65]
	v_fma_f64 v[68:69], v[68:69], s[8:9], v[66:67]
	;; [unrolled: 1-line block ×4, first 2 shown]
	s_delay_alu instid0(VALU_DEP_4) | instskip(NEXT) | instid1(VALU_DEP_4)
	v_fma_f64 v[64:65], v[26:27], s[18:19], v[64:65]
	v_fma_f64 v[68:69], v[26:27], s[18:19], v[68:69]
	s_delay_alu instid0(VALU_DEP_4) | instskip(NEXT) | instid1(VALU_DEP_4)
	v_fma_f64 v[66:67], v[1:2], s[18:19], v[66:67]
	v_fma_f64 v[70:71], v[1:2], s[18:19], v[70:71]
	v_and_b32_e32 v1, 0xff, v31
	s_delay_alu instid0(VALU_DEP_1)
	v_lshl_add_u32 v2, v1, 4, v230
	v_lshl_add_u32 v1, v0, 4, v230
	v_and_b32_e32 v0, 0xff, v3
	ds_store_b128 v2, v[14:17] offset:2720
	ds_store_b128 v2, v[6:9] offset:2992
	;; [unrolled: 1-line block ×6, first 2 shown]
	v_lshl_add_u32 v0, v0, 4, v230
	scratch_store_b32 off, v2, off offset:920 ; 4-byte Folded Spill
	ds_store_b128 v1, v[36:39] offset:4352
	ds_store_b128 v1, v[48:51] offset:4624
	ds_store_b128 v1, v[52:55] offset:4896
	scratch_store_b32 off, v1, off offset:912 ; 4-byte Folded Spill
	ds_store_b128 v1, v[40:43] offset:5168
	ds_store_b128 v0, v[22:25] offset:5440
	;; [unrolled: 1-line block ×5, first 2 shown]
	scratch_store_b32 off, v0, off offset:728 ; 4-byte Folded Spill
	ds_store_b128 v0, v[68:71] offset:6528
	global_wb scope:SCOPE_SE
	s_wait_storecnt_dscnt 0x0
	s_barrier_signal -1
	s_barrier_wait -1
	global_inv scope:SCOPE_SE
	s_clause 0x3
	global_load_b128 v[24:27], v30, s[0:1] offset:1088
	global_load_b128 v[36:39], v30, s[0:1] offset:1104
	;; [unrolled: 1-line block ×4, first 2 shown]
	ds_load_b128 v[0:3], v229 offset:1360
	ds_load_b128 v[12:15], v229 offset:1088
	;; [unrolled: 1-line block ×4, first 2 shown]
	s_wait_loadcnt_dscnt 0x303
	v_mul_f64_e32 v[10:11], v[2:3], v[26:27]
	v_mul_f64_e32 v[20:21], v[0:1], v[26:27]
	s_wait_loadcnt_dscnt 0x201
	v_mul_f64_e32 v[22:23], v[8:9], v[38:39]
	s_clause 0x1
	scratch_store_b128 off, v[24:27], off offset:472
	scratch_store_b128 off, v[36:39], off offset:632
	v_fma_f64 v[10:11], v[0:1], v[24:25], -v[10:11]
	v_mul_f64_e32 v[0:1], v[6:7], v[38:39]
	v_fma_f64 v[32:33], v[2:3], v[24:25], v[20:21]
	v_fma_f64 v[34:35], v[6:7], v[36:37], -v[22:23]
	s_delay_alu instid0(VALU_DEP_3)
	v_fma_f64 v[36:37], v[8:9], v[36:37], v[0:1]
	ds_load_b128 v[0:3], v229 offset:4080
	ds_load_b128 v[6:9], v229 offset:3808
	s_wait_loadcnt 0x1
	scratch_store_b128 off, v[40:43], off offset:616 ; 16-byte Folded Spill
	s_wait_dscnt 0x1
	v_mul_f64_e32 v[20:21], v[2:3], v[42:43]
	s_delay_alu instid0(VALU_DEP_1) | instskip(SKIP_1) | instid1(VALU_DEP_1)
	v_fma_f64 v[38:39], v[0:1], v[40:41], -v[20:21]
	v_mul_f64_e32 v[0:1], v[0:1], v[42:43]
	v_fma_f64 v[40:41], v[2:3], v[40:41], v[0:1]
	ds_load_b128 v[0:3], v229 offset:5440
	ds_load_b128 v[20:23], v229 offset:5712
	s_wait_loadcnt 0x0
	scratch_store_b128 off, v[44:47], off offset:536 ; 16-byte Folded Spill
	s_wait_dscnt 0x1
	v_mul_f64_e32 v[24:25], v[2:3], v[46:47]
	s_delay_alu instid0(VALU_DEP_1)
	v_fma_f64 v[42:43], v[0:1], v[44:45], -v[24:25]
	v_mul_f64_e32 v[0:1], v[0:1], v[46:47]
	s_clause 0x1
	global_load_b128 v[54:57], v28, s[0:1] offset:1088
	global_load_b128 v[46:49], v28, s[0:1] offset:1104
	v_add_f64_e64 v[50:51], v[10:11], -v[42:43]
	v_fma_f64 v[44:45], v[2:3], v[44:45], v[0:1]
	ds_load_b128 v[0:3], v229 offset:1632
	ds_load_b128 v[24:27], v229 offset:1904
	s_wait_loadcnt_dscnt 0x101
	v_mul_f64_e32 v[30:31], v[2:3], v[56:57]
	scratch_store_b128 off, v[54:57], off offset:680 ; 16-byte Folded Spill
	s_wait_loadcnt 0x0
	scratch_store_b128 off, v[46:49], off offset:648 ; 16-byte Folded Spill
	v_fma_f64 v[52:53], v[0:1], v[54:55], -v[30:31]
	v_mul_f64_e32 v[0:1], v[0:1], v[56:57]
	s_delay_alu instid0(VALU_DEP_1) | instskip(SKIP_1) | instid1(VALU_DEP_1)
	v_fma_f64 v[54:55], v[2:3], v[54:55], v[0:1]
	v_mul_f64_e32 v[0:1], v[18:19], v[48:49]
	v_fma_f64 v[56:57], v[16:17], v[46:47], -v[0:1]
	v_mul_f64_e32 v[0:1], v[16:17], v[48:49]
	s_delay_alu instid0(VALU_DEP_1)
	v_fma_f64 v[58:59], v[18:19], v[46:47], v[0:1]
	s_clause 0x1
	global_load_b128 v[62:65], v28, s[0:1] offset:1120
	global_load_b128 v[46:49], v28, s[0:1] offset:1136
	ds_load_b128 v[0:3], v229 offset:4352
	ds_load_b128 v[16:19], v229 offset:4624
	v_lshlrev_b32_e32 v28, 6, v29
	s_wait_loadcnt_dscnt 0x101
	v_mul_f64_e32 v[30:31], v[2:3], v[64:65]
	scratch_store_b128 off, v[62:65], off offset:696 ; 16-byte Folded Spill
	s_wait_loadcnt 0x0
	scratch_store_b128 off, v[46:49], off offset:664 ; 16-byte Folded Spill
	v_fma_f64 v[60:61], v[0:1], v[62:63], -v[30:31]
	v_mul_f64_e32 v[0:1], v[0:1], v[64:65]
	s_delay_alu instid0(VALU_DEP_2) | instskip(NEXT) | instid1(VALU_DEP_2)
	v_add_f64_e64 v[138:139], v[56:57], -v[60:61]
	v_fma_f64 v[62:63], v[2:3], v[62:63], v[0:1]
	v_mul_f64_e32 v[0:1], v[22:23], v[48:49]
	s_delay_alu instid0(VALU_DEP_1) | instskip(SKIP_1) | instid1(VALU_DEP_1)
	v_fma_f64 v[64:65], v[20:21], v[46:47], -v[0:1]
	v_mul_f64_e32 v[0:1], v[20:21], v[48:49]
	v_fma_f64 v[66:67], v[22:23], v[46:47], v[0:1]
	s_clause 0x1
	global_load_b128 v[20:23], v28, s[0:1] offset:1088
	global_load_b128 v[46:49], v28, s[0:1] offset:1104
	s_wait_loadcnt 0x1
	v_mul_f64_e32 v[0:1], v[26:27], v[22:23]
	scratch_store_b128 off, v[20:23], off offset:752 ; 16-byte Folded Spill
	v_fma_f64 v[76:77], v[24:25], v[20:21], -v[0:1]
	v_mul_f64_e32 v[0:1], v[24:25], v[22:23]
	s_delay_alu instid0(VALU_DEP_1)
	v_fma_f64 v[78:79], v[26:27], v[20:21], v[0:1]
	ds_load_b128 v[0:3], v229 offset:3264
	ds_load_b128 v[20:23], v229 offset:3536
	s_wait_loadcnt 0x0
	scratch_store_b128 off, v[46:49], off offset:712 ; 16-byte Folded Spill
	s_wait_dscnt 0x1
	v_mul_f64_e32 v[24:25], v[2:3], v[48:49]
	s_delay_alu instid0(VALU_DEP_1) | instskip(SKIP_1) | instid1(VALU_DEP_1)
	v_fma_f64 v[92:93], v[0:1], v[46:47], -v[24:25]
	v_mul_f64_e32 v[0:1], v[0:1], v[48:49]
	v_fma_f64 v[94:95], v[2:3], v[46:47], v[0:1]
	s_clause 0x1
	global_load_b128 v[46:49], v28, s[0:1] offset:1120
	global_load_b128 v[26:29], v28, s[0:1] offset:1136
	s_wait_loadcnt 0x1
	v_mul_f64_e32 v[0:1], v[18:19], v[48:49]
	scratch_store_b128 off, v[46:49], off offset:784 ; 16-byte Folded Spill
	v_fma_f64 v[96:97], v[16:17], v[46:47], -v[0:1]
	v_mul_f64_e32 v[0:1], v[16:17], v[48:49]
	s_delay_alu instid0(VALU_DEP_2) | instskip(NEXT) | instid1(VALU_DEP_2)
	v_add_f64_e64 v[144:145], v[92:93], -v[96:97]
	v_fma_f64 v[98:99], v[18:19], v[46:47], v[0:1]
	ds_load_b128 v[0:3], v229 offset:5984
	ds_load_b128 v[16:19], v229 offset:6256
	s_wait_loadcnt 0x0
	scratch_store_b128 off, v[26:29], off offset:736 ; 16-byte Folded Spill
	s_clause 0x1
	global_load_b128 v[68:71], v4, s[0:1] offset:1088
	global_load_b128 v[46:49], v4, s[0:1] offset:1104
	s_wait_dscnt 0x1
	v_mul_f64_e32 v[24:25], v[2:3], v[28:29]
	v_add_f64_e64 v[140:141], v[94:95], -v[98:99]
	s_delay_alu instid0(VALU_DEP_2) | instskip(SKIP_1) | instid1(VALU_DEP_2)
	v_fma_f64 v[100:101], v[0:1], v[26:27], -v[24:25]
	v_mul_f64_e32 v[0:1], v[0:1], v[28:29]
	v_add_f64_e64 v[142:143], v[76:77], -v[100:101]
	s_delay_alu instid0(VALU_DEP_2)
	v_fma_f64 v[102:103], v[2:3], v[26:27], v[0:1]
	ds_load_b128 v[0:3], v229 offset:2176
	ds_load_b128 v[24:27], v229 offset:2448
	s_wait_loadcnt_dscnt 0x101
	v_mul_f64_e32 v[28:29], v[2:3], v[70:71]
	scratch_store_b128 off, v[68:71], off offset:816 ; 16-byte Folded Spill
	s_wait_loadcnt 0x0
	scratch_store_b128 off, v[46:49], off offset:768 ; 16-byte Folded Spill
	v_fma_f64 v[104:105], v[0:1], v[68:69], -v[28:29]
	v_mul_f64_e32 v[0:1], v[0:1], v[70:71]
	s_delay_alu instid0(VALU_DEP_1) | instskip(SKIP_1) | instid1(VALU_DEP_1)
	v_fma_f64 v[106:107], v[2:3], v[68:69], v[0:1]
	v_mul_f64_e32 v[0:1], v[22:23], v[48:49]
	v_fma_f64 v[112:113], v[20:21], v[46:47], -v[0:1]
	v_mul_f64_e32 v[0:1], v[20:21], v[48:49]
	s_delay_alu instid0(VALU_DEP_1)
	v_fma_f64 v[114:115], v[22:23], v[46:47], v[0:1]
	s_clause 0x1
	global_load_b128 v[68:71], v4, s[0:1] offset:1120
	global_load_b128 v[46:49], v4, s[0:1] offset:1136
	ds_load_b128 v[0:3], v229 offset:4896
	ds_load_b128 v[20:23], v229 offset:5168
	s_wait_loadcnt_dscnt 0x101
	v_mul_f64_e32 v[28:29], v[2:3], v[70:71]
	scratch_store_b128 off, v[68:71], off offset:832 ; 16-byte Folded Spill
	s_wait_loadcnt 0x0
	scratch_store_b128 off, v[46:49], off offset:800 ; 16-byte Folded Spill
	v_fma_f64 v[116:117], v[0:1], v[68:69], -v[28:29]
	v_mul_f64_e32 v[0:1], v[0:1], v[70:71]
	v_add_f64_e64 v[70:71], v[52:53], -v[64:65]
	s_delay_alu instid0(VALU_DEP_2) | instskip(SKIP_3) | instid1(VALU_DEP_3)
	v_fma_f64 v[118:119], v[2:3], v[68:69], v[0:1]
	v_mul_f64_e32 v[0:1], v[18:19], v[48:49]
	v_lshlrev_b32_e32 v2, 6, v5
	v_add_f64_e64 v[68:69], v[34:35], -v[38:39]
	v_fma_f64 v[120:121], v[16:17], v[46:47], -v[0:1]
	v_mul_f64_e32 v[0:1], v[16:17], v[48:49]
	s_delay_alu instid0(VALU_DEP_1)
	v_fma_f64 v[16:17], v[18:19], v[46:47], v[0:1]
	s_clause 0x1
	global_load_b128 v[46:49], v2, s[0:1] offset:1088
	global_load_b128 v[28:31], v2, s[0:1] offset:1104
	s_wait_loadcnt 0x1
	v_mul_f64_e32 v[0:1], v[26:27], v[48:49]
	scratch_store_b128 off, v[46:49], off offset:880 ; 16-byte Folded Spill
	s_wait_loadcnt 0x0
	scratch_store_b128 off, v[28:31], off offset:848 ; 16-byte Folded Spill
	v_fma_f64 v[122:123], v[24:25], v[46:47], -v[0:1]
	v_mul_f64_e32 v[0:1], v[24:25], v[48:49]
	v_add_f64_e64 v[48:49], v[36:37], -v[40:41]
	s_delay_alu instid0(VALU_DEP_2) | instskip(SKIP_2) | instid1(VALU_DEP_2)
	v_fma_f64 v[124:125], v[26:27], v[46:47], v[0:1]
	v_mul_f64_e32 v[0:1], v[8:9], v[30:31]
	v_add_f64_e64 v[46:47], v[32:33], -v[44:45]
	v_fma_f64 v[126:127], v[6:7], v[28:29], -v[0:1]
	v_mul_f64_e32 v[0:1], v[6:7], v[30:31]
	s_delay_alu instid0(VALU_DEP_1)
	v_fma_f64 v[128:129], v[8:9], v[28:29], v[0:1]
	s_clause 0x1
	global_load_b128 v[24:27], v2, s[0:1] offset:1120
	global_load_b128 v[6:9], v2, s[0:1] offset:1136
	s_add_nc_u64 s[0:1], s[12:13], 0x1a90
	s_wait_loadcnt_dscnt 0x100
	v_mul_f64_e32 v[0:1], v[22:23], v[26:27]
	scratch_store_b128 off, v[24:27], off offset:896 ; 16-byte Folded Spill
	s_wait_loadcnt 0x0
	scratch_store_b128 off, v[6:9], off offset:864 ; 16-byte Folded Spill
	v_fma_f64 v[130:131], v[20:21], v[24:25], -v[0:1]
	v_mul_f64_e32 v[0:1], v[20:21], v[26:27]
	s_delay_alu instid0(VALU_DEP_1) | instskip(SKIP_4) | instid1(VALU_DEP_1)
	v_fma_f64 v[20:21], v[22:23], v[24:25], v[0:1]
	ds_load_b128 v[0:3], v229 offset:6528
	v_add_f64_e32 v[24:25], v[34:35], v[38:39]
	s_wait_dscnt 0x0
	v_mul_f64_e32 v[4:5], v[2:3], v[8:9]
	v_fma_f64 v[22:23], v[0:1], v[6:7], -v[4:5]
	v_mul_f64_e32 v[0:1], v[0:1], v[8:9]
	s_delay_alu instid0(VALU_DEP_1) | instskip(SKIP_2) | instid1(VALU_DEP_1)
	v_fma_f64 v[136:137], v[2:3], v[6:7], v[0:1]
	v_add_f64_e64 v[0:1], v[10:11], -v[34:35]
	v_add_f64_e64 v[2:3], v[42:43], -v[38:39]
	v_add_f64_e32 v[8:9], v[0:1], v[2:3]
	v_add_f64_e64 v[0:1], v[32:33], -v[36:37]
	v_add_f64_e64 v[2:3], v[44:45], -v[40:41]
	s_delay_alu instid0(VALU_DEP_1)
	v_add_f64_e32 v[18:19], v[0:1], v[2:3]
	ds_load_b128 v[0:3], v229
	ds_load_b128 v[4:7], v229 offset:272
	s_wait_dscnt 0x1
	v_fma_f64 v[28:29], v[24:25], -0.5, v[0:1]
	v_add_f64_e32 v[24:25], v[36:37], v[40:41]
	s_delay_alu instid0(VALU_DEP_1) | instskip(NEXT) | instid1(VALU_DEP_3)
	v_fma_f64 v[30:31], v[24:25], -0.5, v[2:3]
	v_fma_f64 v[24:25], v[46:47], s[14:15], v[28:29]
	v_fma_f64 v[28:29], v[46:47], s[16:17], v[28:29]
	s_delay_alu instid0(VALU_DEP_3) | instskip(SKIP_1) | instid1(VALU_DEP_4)
	v_fma_f64 v[26:27], v[50:51], s[16:17], v[30:31]
	v_fma_f64 v[30:31], v[50:51], s[14:15], v[30:31]
	;; [unrolled: 1-line block ×3, first 2 shown]
	s_delay_alu instid0(VALU_DEP_4) | instskip(NEXT) | instid1(VALU_DEP_4)
	v_fma_f64 v[28:29], v[48:49], s[8:9], v[28:29]
	v_fma_f64 v[26:27], v[68:69], s[8:9], v[26:27]
	s_delay_alu instid0(VALU_DEP_4) | instskip(NEXT) | instid1(VALU_DEP_4)
	v_fma_f64 v[30:31], v[68:69], s[2:3], v[30:31]
	v_fma_f64 v[24:25], v[8:9], s[18:19], v[24:25]
	s_delay_alu instid0(VALU_DEP_4) | instskip(SKIP_4) | instid1(VALU_DEP_4)
	v_fma_f64 v[28:29], v[8:9], s[18:19], v[28:29]
	v_add_f64_e32 v[8:9], v[10:11], v[42:43]
	v_fma_f64 v[26:27], v[18:19], s[18:19], v[26:27]
	v_fma_f64 v[30:31], v[18:19], s[18:19], v[30:31]
	v_add_f64_e32 v[18:19], v[32:33], v[44:45]
	v_fma_f64 v[8:9], v[8:9], -0.5, v[0:1]
	v_add_f64_e32 v[0:1], v[0:1], v[10:11]
	v_add_f64_e64 v[10:11], v[34:35], -v[10:11]
	s_delay_alu instid0(VALU_DEP_4) | instskip(SKIP_1) | instid1(VALU_DEP_4)
	v_fma_f64 v[18:19], v[18:19], -0.5, v[2:3]
	v_add_f64_e32 v[2:3], v[2:3], v[32:33]
	v_add_f64_e32 v[0:1], v[0:1], v[34:35]
	s_delay_alu instid0(VALU_DEP_2) | instskip(SKIP_1) | instid1(VALU_DEP_3)
	v_add_f64_e32 v[2:3], v[2:3], v[36:37]
	v_add_f64_e64 v[36:37], v[36:37], -v[32:33]
	v_add_f64_e32 v[0:1], v[0:1], v[38:39]
	v_add_f64_e64 v[38:39], v[38:39], -v[42:43]
	s_delay_alu instid0(VALU_DEP_4) | instskip(NEXT) | instid1(VALU_DEP_3)
	v_add_f64_e32 v[2:3], v[2:3], v[40:41]
	v_add_f64_e32 v[32:33], v[0:1], v[42:43]
	v_add_f64_e64 v[0:1], v[40:41], -v[44:45]
	v_fma_f64 v[40:41], v[68:69], s[14:15], v[18:19]
	v_fma_f64 v[18:19], v[68:69], s[16:17], v[18:19]
	v_add_f64_e32 v[10:11], v[10:11], v[38:39]
	v_add_f64_e64 v[68:69], v[58:59], -v[62:63]
	v_add_f64_e32 v[34:35], v[2:3], v[44:45]
	v_fma_f64 v[2:3], v[48:49], s[16:17], v[8:9]
	v_fma_f64 v[8:9], v[48:49], s[14:15], v[8:9]
	v_add_f64_e32 v[0:1], v[36:37], v[0:1]
	v_fma_f64 v[38:39], v[50:51], s[8:9], v[40:41]
	v_fma_f64 v[18:19], v[50:51], s[2:3], v[18:19]
	;; [unrolled: 1-line block ×4, first 2 shown]
	s_delay_alu instid0(VALU_DEP_4) | instskip(NEXT) | instid1(VALU_DEP_4)
	v_fma_f64 v[38:39], v[0:1], s[18:19], v[38:39]
	v_fma_f64 v[42:43], v[0:1], s[18:19], v[18:19]
	v_add_f64_e64 v[0:1], v[52:53], -v[56:57]
	v_add_f64_e64 v[18:19], v[54:55], -v[66:67]
	v_fma_f64 v[36:37], v[10:11], s[18:19], v[2:3]
	v_add_f64_e64 v[2:3], v[64:65], -v[60:61]
	v_fma_f64 v[40:41], v[10:11], s[18:19], v[8:9]
	v_add_f64_e64 v[8:9], v[66:67], -v[62:63]
	v_add_f64_e32 v[10:11], v[58:59], v[62:63]
	s_delay_alu instid0(VALU_DEP_4) | instskip(SKIP_2) | instid1(VALU_DEP_3)
	v_add_f64_e32 v[0:1], v[0:1], v[2:3]
	v_add_f64_e64 v[2:3], v[54:55], -v[58:59]
	s_wait_dscnt 0x0
	v_fma_f64 v[10:11], v[10:11], -0.5, v[6:7]
	s_delay_alu instid0(VALU_DEP_2) | instskip(SKIP_1) | instid1(VALU_DEP_3)
	v_add_f64_e32 v[2:3], v[2:3], v[8:9]
	v_add_f64_e32 v[8:9], v[56:57], v[60:61]
	v_fma_f64 v[46:47], v[70:71], s[16:17], v[10:11]
	v_fma_f64 v[10:11], v[70:71], s[14:15], v[10:11]
	s_delay_alu instid0(VALU_DEP_3) | instskip(NEXT) | instid1(VALU_DEP_3)
	v_fma_f64 v[8:9], v[8:9], -0.5, v[4:5]
	v_fma_f64 v[46:47], v[138:139], s[8:9], v[46:47]
	s_delay_alu instid0(VALU_DEP_3) | instskip(NEXT) | instid1(VALU_DEP_3)
	v_fma_f64 v[10:11], v[138:139], s[2:3], v[10:11]
	v_fma_f64 v[44:45], v[18:19], s[14:15], v[8:9]
	v_fma_f64 v[8:9], v[18:19], s[16:17], v[8:9]
	s_delay_alu instid0(VALU_DEP_4) | instskip(NEXT) | instid1(VALU_DEP_4)
	v_fma_f64 v[46:47], v[2:3], s[18:19], v[46:47]
	v_fma_f64 v[50:51], v[2:3], s[18:19], v[10:11]
	v_add_f64_e32 v[2:3], v[54:55], v[66:67]
	v_add_f64_e64 v[10:11], v[58:59], -v[54:55]
	v_fma_f64 v[44:45], v[68:69], s[2:3], v[44:45]
	v_fma_f64 v[8:9], v[68:69], s[8:9], v[8:9]
	s_delay_alu instid0(VALU_DEP_4) | instskip(SKIP_1) | instid1(VALU_DEP_4)
	v_fma_f64 v[2:3], v[2:3], -0.5, v[6:7]
	v_add_f64_e32 v[6:7], v[6:7], v[54:55]
	v_fma_f64 v[44:45], v[0:1], s[18:19], v[44:45]
	s_delay_alu instid0(VALU_DEP_4)
	v_fma_f64 v[48:49], v[0:1], s[18:19], v[8:9]
	v_add_f64_e32 v[0:1], v[52:53], v[64:65]
	v_add_f64_e64 v[8:9], v[56:57], -v[52:53]
	v_add_f64_e32 v[6:7], v[6:7], v[58:59]
	v_fma_f64 v[58:59], v[138:139], s[14:15], v[2:3]
	v_fma_f64 v[2:3], v[138:139], s[16:17], v[2:3]
	v_add_f64_e64 v[138:139], v[78:79], -v[102:103]
	v_fma_f64 v[0:1], v[0:1], -0.5, v[4:5]
	v_add_f64_e32 v[4:5], v[4:5], v[52:53]
	v_add_f64_e32 v[6:7], v[6:7], v[62:63]
	v_fma_f64 v[2:3], v[70:71], s[2:3], v[2:3]
	s_delay_alu instid0(VALU_DEP_3) | instskip(SKIP_1) | instid1(VALU_DEP_4)
	v_add_f64_e32 v[4:5], v[4:5], v[56:57]
	v_add_f64_e64 v[56:57], v[60:61], -v[64:65]
	v_add_f64_e32 v[54:55], v[6:7], v[66:67]
	v_fma_f64 v[6:7], v[68:69], s[16:17], v[0:1]
	v_fma_f64 v[0:1], v[68:69], s[14:15], v[0:1]
	v_add_f64_e32 v[4:5], v[4:5], v[60:61]
	v_add_f64_e32 v[8:9], v[8:9], v[56:57]
	s_delay_alu instid0(VALU_DEP_4) | instskip(NEXT) | instid1(VALU_DEP_4)
	v_fma_f64 v[6:7], v[18:19], s[2:3], v[6:7]
	v_fma_f64 v[0:1], v[18:19], s[8:9], v[0:1]
	v_add_f64_e32 v[18:19], v[92:93], v[96:97]
	v_add_f64_e32 v[52:53], v[4:5], v[64:65]
	v_add_f64_e64 v[4:5], v[62:63], -v[66:67]
	v_add_f64_e32 v[64:65], v[94:95], v[98:99]
	v_fma_f64 v[56:57], v[8:9], s[18:19], v[6:7]
	v_fma_f64 v[60:61], v[8:9], s[18:19], v[0:1]
	v_add_f64_e64 v[0:1], v[76:77], -v[92:93]
	v_add_f64_e32 v[4:5], v[10:11], v[4:5]
	v_fma_f64 v[10:11], v[70:71], s[8:9], v[58:59]
	s_delay_alu instid0(VALU_DEP_2) | instskip(SKIP_1) | instid1(VALU_DEP_3)
	v_fma_f64 v[62:63], v[4:5], s[18:19], v[2:3]
	v_add_f64_e64 v[2:3], v[100:101], -v[96:97]
	v_fma_f64 v[58:59], v[4:5], s[18:19], v[10:11]
	s_delay_alu instid0(VALU_DEP_2) | instskip(SKIP_2) | instid1(VALU_DEP_1)
	v_add_f64_e32 v[8:9], v[0:1], v[2:3]
	v_add_f64_e64 v[0:1], v[78:79], -v[94:95]
	v_add_f64_e64 v[2:3], v[102:103], -v[98:99]
	v_add_f64_e32 v[10:11], v[0:1], v[2:3]
	ds_load_b128 v[0:3], v229 offset:544
	ds_load_b128 v[4:7], v229 offset:816
	s_wait_dscnt 0x1
	v_fma_f64 v[18:19], v[18:19], -0.5, v[0:1]
	v_fma_f64 v[68:69], v[64:65], -0.5, v[2:3]
	s_delay_alu instid0(VALU_DEP_2) | instskip(NEXT) | instid1(VALU_DEP_2)
	v_fma_f64 v[64:65], v[138:139], s[14:15], v[18:19]
	v_fma_f64 v[66:67], v[142:143], s[16:17], v[68:69]
	;; [unrolled: 1-line block ×4, first 2 shown]
	s_delay_alu instid0(VALU_DEP_4) | instskip(NEXT) | instid1(VALU_DEP_4)
	v_fma_f64 v[64:65], v[140:141], s[2:3], v[64:65]
	v_fma_f64 v[66:67], v[144:145], s[8:9], v[66:67]
	s_delay_alu instid0(VALU_DEP_4) | instskip(NEXT) | instid1(VALU_DEP_4)
	v_fma_f64 v[18:19], v[140:141], s[8:9], v[18:19]
	v_fma_f64 v[70:71], v[144:145], s[2:3], v[68:69]
	;; [unrolled: 3-line block ×4, first 2 shown]
	v_add_f64_e32 v[8:9], v[76:77], v[100:101]
	v_add_f64_e32 v[10:11], v[78:79], v[102:103]
	v_add_f64_e64 v[18:19], v[92:93], -v[76:77]
	s_delay_alu instid0(VALU_DEP_3) | instskip(NEXT) | instid1(VALU_DEP_3)
	v_fma_f64 v[8:9], v[8:9], -0.5, v[0:1]
	v_fma_f64 v[10:11], v[10:11], -0.5, v[2:3]
	v_add_f64_e32 v[0:1], v[0:1], v[76:77]
	v_add_f64_e32 v[2:3], v[2:3], v[78:79]
	s_delay_alu instid0(VALU_DEP_2) | instskip(NEXT) | instid1(VALU_DEP_2)
	v_add_f64_e32 v[0:1], v[0:1], v[92:93]
	v_add_f64_e32 v[2:3], v[2:3], v[94:95]
	v_add_f64_e64 v[92:93], v[94:95], -v[78:79]
	v_add_f64_e64 v[94:95], v[96:97], -v[100:101]
	s_delay_alu instid0(VALU_DEP_4) | instskip(NEXT) | instid1(VALU_DEP_4)
	v_add_f64_e32 v[0:1], v[0:1], v[96:97]
	v_add_f64_e32 v[2:3], v[2:3], v[98:99]
	v_fma_f64 v[96:97], v[144:145], s[14:15], v[10:11]
	v_fma_f64 v[10:11], v[144:145], s[16:17], v[10:11]
	v_add_f64_e32 v[18:19], v[18:19], v[94:95]
	v_add_f64_e32 v[76:77], v[0:1], v[100:101]
	;; [unrolled: 1-line block ×3, first 2 shown]
	v_add_f64_e64 v[0:1], v[98:99], -v[102:103]
	v_fma_f64 v[2:3], v[140:141], s[16:17], v[8:9]
	v_fma_f64 v[8:9], v[140:141], s[14:15], v[8:9]
	;; [unrolled: 1-line block ×4, first 2 shown]
	v_add_f64_e64 v[140:141], v[104:105], -v[120:121]
	v_add_f64_e64 v[142:143], v[112:113], -v[116:117]
	v_add_f64_e32 v[0:1], v[92:93], v[0:1]
	v_fma_f64 v[2:3], v[138:139], s[2:3], v[2:3]
	v_fma_f64 v[8:9], v[138:139], s[8:9], v[8:9]
	v_add_f64_e64 v[138:139], v[114:115], -v[118:119]
	s_delay_alu instid0(VALU_DEP_4) | instskip(NEXT) | instid1(VALU_DEP_4)
	v_fma_f64 v[94:95], v[0:1], s[18:19], v[94:95]
	v_fma_f64 v[92:93], v[18:19], s[18:19], v[2:3]
	;; [unrolled: 1-line block ×3, first 2 shown]
	v_add_f64_e64 v[0:1], v[104:105], -v[112:113]
	v_add_f64_e64 v[2:3], v[120:121], -v[116:117]
	v_fma_f64 v[96:97], v[18:19], s[18:19], v[8:9]
	v_add_f64_e64 v[8:9], v[16:17], -v[118:119]
	v_add_f64_e32 v[10:11], v[114:115], v[118:119]
	v_add_f64_e64 v[18:19], v[106:107], -v[16:17]
	v_add_f64_e32 v[0:1], v[0:1], v[2:3]
	v_add_f64_e64 v[2:3], v[106:107], -v[114:115]
	s_wait_dscnt 0x0
	s_delay_alu instid0(VALU_DEP_4) | instskip(NEXT) | instid1(VALU_DEP_2)
	v_fma_f64 v[10:11], v[10:11], -0.5, v[6:7]
	v_add_f64_e32 v[2:3], v[2:3], v[8:9]
	v_add_f64_e32 v[8:9], v[112:113], v[116:117]
	s_delay_alu instid0(VALU_DEP_3) | instskip(SKIP_1) | instid1(VALU_DEP_3)
	v_fma_f64 v[102:103], v[140:141], s[16:17], v[10:11]
	v_fma_f64 v[10:11], v[140:141], s[14:15], v[10:11]
	v_fma_f64 v[8:9], v[8:9], -0.5, v[4:5]
	s_delay_alu instid0(VALU_DEP_3) | instskip(NEXT) | instid1(VALU_DEP_3)
	v_fma_f64 v[102:103], v[142:143], s[8:9], v[102:103]
	v_fma_f64 v[10:11], v[142:143], s[2:3], v[10:11]
	s_delay_alu instid0(VALU_DEP_3) | instskip(SKIP_1) | instid1(VALU_DEP_4)
	v_fma_f64 v[100:101], v[18:19], s[14:15], v[8:9]
	v_fma_f64 v[8:9], v[18:19], s[16:17], v[8:9]
	;; [unrolled: 1-line block ×3, first 2 shown]
	s_delay_alu instid0(VALU_DEP_4) | instskip(SKIP_4) | instid1(VALU_DEP_4)
	v_fma_f64 v[86:87], v[2:3], s[18:19], v[10:11]
	v_add_f64_e32 v[2:3], v[106:107], v[16:17]
	v_add_f64_e64 v[10:11], v[114:115], -v[106:107]
	v_fma_f64 v[100:101], v[138:139], s[2:3], v[100:101]
	v_fma_f64 v[8:9], v[138:139], s[8:9], v[8:9]
	v_fma_f64 v[2:3], v[2:3], -0.5, v[6:7]
	v_add_f64_e32 v[6:7], v[6:7], v[106:107]
	s_delay_alu instid0(VALU_DEP_4) | instskip(NEXT) | instid1(VALU_DEP_4)
	v_fma_f64 v[100:101], v[0:1], s[18:19], v[100:101]
	v_fma_f64 v[84:85], v[0:1], s[18:19], v[8:9]
	v_add_f64_e32 v[0:1], v[104:105], v[120:121]
	v_add_f64_e64 v[8:9], v[112:113], -v[104:105]
	v_add_f64_e32 v[6:7], v[6:7], v[114:115]
	v_add_f64_e64 v[114:115], v[124:125], -v[136:137]
	s_delay_alu instid0(VALU_DEP_4) | instskip(SKIP_1) | instid1(VALU_DEP_4)
	v_fma_f64 v[0:1], v[0:1], -0.5, v[4:5]
	v_add_f64_e32 v[4:5], v[4:5], v[104:105]
	v_add_f64_e32 v[6:7], v[6:7], v[118:119]
	s_delay_alu instid0(VALU_DEP_2) | instskip(SKIP_1) | instid1(VALU_DEP_3)
	v_add_f64_e32 v[4:5], v[4:5], v[112:113]
	v_add_f64_e64 v[112:113], v[116:117], -v[120:121]
	v_add_f64_e32 v[106:107], v[6:7], v[16:17]
	v_fma_f64 v[6:7], v[138:139], s[16:17], v[0:1]
	v_fma_f64 v[0:1], v[138:139], s[14:15], v[0:1]
	v_add_f64_e32 v[4:5], v[4:5], v[116:117]
	v_add_f64_e32 v[8:9], v[8:9], v[112:113]
	v_add_f64_e64 v[112:113], v[128:129], -v[20:21]
	v_fma_f64 v[6:7], v[18:19], s[2:3], v[6:7]
	v_fma_f64 v[0:1], v[18:19], s[8:9], v[0:1]
	v_add_f64_e64 v[116:117], v[126:127], -v[130:131]
	v_add_f64_e32 v[104:105], v[4:5], v[120:121]
	v_add_f64_e64 v[4:5], v[118:119], -v[16:17]
	v_fma_f64 v[16:17], v[142:143], s[14:15], v[2:3]
	v_fma_f64 v[2:3], v[142:143], s[16:17], v[2:3]
	;; [unrolled: 1-line block ×3, first 2 shown]
	v_add_f64_e64 v[6:7], v[130:131], -v[22:23]
	v_fma_f64 v[88:89], v[8:9], s[18:19], v[0:1]
	v_add_f64_e64 v[8:9], v[20:21], -v[136:137]
	v_add_f64_e64 v[118:119], v[122:123], -v[22:23]
	v_lshl_add_u32 v0, v72, 4, v230
	ds_store_b128 v0, v[52:55] offset:272
	ds_store_b128 v0, v[76:79] offset:544
	;; [unrolled: 1-line block ×10, first 2 shown]
	ds_store_b128 v229, v[32:35]
	ds_store_b128 v229, v[64:67] offset:1904
	ds_store_b128 v229, v[92:95] offset:3264
	;; [unrolled: 1-line block ×6, first 2 shown]
	scratch_store_b128 off, v[84:87], off offset:1076 ; 16-byte Folded Spill
	ds_store_b128 v229, v[84:87] offset:6256
	v_add_f64_e32 v[4:5], v[10:11], v[4:5]
	v_fma_f64 v[10:11], v[140:141], s[8:9], v[16:17]
	v_fma_f64 v[2:3], v[140:141], s[2:3], v[2:3]
	s_delay_alu instid0(VALU_DEP_2) | instskip(NEXT) | instid1(VALU_DEP_2)
	v_fma_f64 v[82:83], v[4:5], s[18:19], v[10:11]
	v_fma_f64 v[90:91], v[4:5], s[18:19], v[2:3]
	v_add_f64_e64 v[4:5], v[126:127], -v[122:123]
	scratch_store_b128 off, v[80:83], off offset:1060 ; 16-byte Folded Spill
	ds_store_b128 v229, v[80:83] offset:3536
	ds_store_b128 v229, v[88:91] offset:4896
	v_add_f64_e32 v[4:5], v[4:5], v[6:7]
	v_add_f64_e64 v[6:7], v[128:129], -v[124:125]
	scratch_store_b128 off, v[88:91], off offset:1092 ; 16-byte Folded Spill
	v_add_f64_e32 v[6:7], v[6:7], v[8:9]
	v_add_f64_e32 v[8:9], v[122:123], v[22:23]
	s_delay_alu instid0(VALU_DEP_1) | instskip(SKIP_1) | instid1(VALU_DEP_1)
	v_fma_f64 v[16:17], v[8:9], -0.5, v[12:13]
	v_add_f64_e32 v[8:9], v[124:125], v[136:137]
	v_fma_f64 v[18:19], v[8:9], -0.5, v[14:15]
	s_delay_alu instid0(VALU_DEP_3) | instskip(SKIP_1) | instid1(VALU_DEP_3)
	v_fma_f64 v[8:9], v[112:113], s[16:17], v[16:17]
	v_fma_f64 v[16:17], v[112:113], s[14:15], v[16:17]
	;; [unrolled: 1-line block ×3, first 2 shown]
	s_delay_alu instid0(VALU_DEP_3) | instskip(NEXT) | instid1(VALU_DEP_3)
	v_fma_f64 v[8:9], v[114:115], s[2:3], v[8:9]
	v_fma_f64 v[16:17], v[114:115], s[8:9], v[16:17]
	;; [unrolled: 1-line block ×3, first 2 shown]
	s_delay_alu instid0(VALU_DEP_4) | instskip(NEXT) | instid1(VALU_DEP_4)
	v_fma_f64 v[10:11], v[118:119], s[8:9], v[10:11]
	v_fma_f64 v[8:9], v[4:5], s[18:19], v[8:9]
	s_delay_alu instid0(VALU_DEP_4) | instskip(SKIP_3) | instid1(VALU_DEP_3)
	v_fma_f64 v[16:17], v[4:5], s[18:19], v[16:17]
	v_add_f64_e32 v[4:5], v[126:127], v[130:131]
	v_fma_f64 v[18:19], v[118:119], s[2:3], v[18:19]
	v_fma_f64 v[10:11], v[6:7], s[18:19], v[10:11]
	v_fma_f64 v[120:121], v[4:5], -0.5, v[12:13]
	v_add_f64_e32 v[4:5], v[128:129], v[20:21]
	s_delay_alu instid0(VALU_DEP_4) | instskip(SKIP_1) | instid1(VALU_DEP_3)
	v_fma_f64 v[18:19], v[6:7], s[18:19], v[18:19]
	v_add_f64_e32 v[6:7], v[14:15], v[124:125]
	v_fma_f64 v[138:139], v[4:5], -0.5, v[14:15]
	v_add_f64_e32 v[4:5], v[12:13], v[122:123]
	s_delay_alu instid0(VALU_DEP_3)
	v_add_f64_e32 v[6:7], v[6:7], v[128:129]
	v_add_f64_e64 v[12:13], v[122:123], -v[126:127]
	v_add_f64_e64 v[14:15], v[124:125], -v[128:129]
	;; [unrolled: 1-line block ×3, first 2 shown]
	v_add_f64_e32 v[4:5], v[4:5], v[126:127]
	v_add_f64_e32 v[6:7], v[6:7], v[20:21]
	v_add_f64_e64 v[20:21], v[136:137], -v[20:21]
	s_delay_alu instid0(VALU_DEP_4) | instskip(NEXT) | instid1(VALU_DEP_4)
	v_add_f64_e32 v[122:123], v[12:13], v[122:123]
	v_add_f64_e32 v[4:5], v[4:5], v[130:131]
	s_delay_alu instid0(VALU_DEP_3) | instskip(NEXT) | instid1(VALU_DEP_2)
	v_add_f64_e32 v[124:125], v[14:15], v[20:21]
	v_add_f64_e32 v[1:2], v[4:5], v[22:23]
	v_fma_f64 v[22:23], v[114:115], s[14:15], v[120:121]
	v_fma_f64 v[114:115], v[114:115], s[16:17], v[120:121]
	v_fma_f64 v[120:121], v[118:119], s[16:17], v[138:139]
	v_fma_f64 v[118:119], v[118:119], s[14:15], v[138:139]
	v_add_f64_e32 v[3:4], v[6:7], v[136:137]
	s_clause 0x1
	scratch_store_b32 off, v0, off offset:12
	scratch_store_b128 off, v[1:4], off offset:1108
	v_fma_f64 v[12:13], v[112:113], s[2:3], v[22:23]
	v_fma_f64 v[20:21], v[112:113], s[8:9], v[114:115]
	;; [unrolled: 1-line block ×4, first 2 shown]
	ds_store_b128 v0, v[1:4] offset:1088
	scratch_store_b128 off, v[8:11], off offset:1124 ; 16-byte Folded Spill
	ds_store_b128 v229, v[8:11] offset:3808
	v_fma_f64 v[12:13], v[122:123], s[18:19], v[12:13]
	v_fma_f64 v[20:21], v[122:123], s[18:19], v[20:21]
	;; [unrolled: 1-line block ×4, first 2 shown]
	scratch_store_b128 off, v[16:19], off offset:1156 ; 16-byte Folded Spill
	ds_store_b128 v229, v[16:19] offset:5168
	scratch_store_b128 off, v[12:15], off offset:1140 ; 16-byte Folded Spill
	ds_store_b128 v229, v[12:15] offset:2448
	;; [unrolled: 2-line block ×3, first 2 shown]
	global_wb scope:SCOPE_SE
	s_wait_storecnt_dscnt 0x0
	s_barrier_signal -1
	s_barrier_wait -1
	global_inv scope:SCOPE_SE
	scratch_load_b64 v[0:1], off, off offset:4 ; 8-byte Folded Reload
	s_wait_loadcnt 0x0
	global_load_b128 v[24:27], v[0:1], off offset:6800
	ds_load_b128 v[28:31], v229
	ds_load_b128 v[32:35], v229 offset:400
	s_wait_loadcnt_dscnt 0x1
	v_mul_f64_e32 v[36:37], v[30:31], v[26:27]
	v_mul_f64_e32 v[38:39], v[28:29], v[26:27]
	s_delay_alu instid0(VALU_DEP_2) | instskip(NEXT) | instid1(VALU_DEP_2)
	v_fma_f64 v[26:27], v[28:29], v[24:25], -v[36:37]
	v_fma_f64 v[28:29], v[30:31], v[24:25], v[38:39]
	s_clause 0x1
	global_load_b128 v[36:39], v174, s[0:1] offset:400
	global_load_b128 v[40:43], v174, s[0:1] offset:800
	s_wait_loadcnt_dscnt 0x100
	v_mul_f64_e32 v[24:25], v[34:35], v[38:39]
	v_mul_f64_e32 v[38:39], v[32:33], v[38:39]
	s_delay_alu instid0(VALU_DEP_2) | instskip(NEXT) | instid1(VALU_DEP_2)
	v_fma_f64 v[30:31], v[32:33], v[36:37], -v[24:25]
	v_fma_f64 v[32:33], v[34:35], v[36:37], v[38:39]
	ds_load_b128 v[34:37], v229 offset:800
	ds_load_b128 v[44:47], v229 offset:1200
	s_wait_loadcnt_dscnt 0x1
	v_mul_f64_e32 v[24:25], v[36:37], v[42:43]
	v_mul_f64_e32 v[38:39], v[34:35], v[42:43]
	s_delay_alu instid0(VALU_DEP_2) | instskip(NEXT) | instid1(VALU_DEP_2)
	v_fma_f64 v[34:35], v[34:35], v[40:41], -v[24:25]
	v_fma_f64 v[36:37], v[36:37], v[40:41], v[38:39]
	s_clause 0x1
	global_load_b128 v[38:41], v174, s[0:1] offset:1200
	global_load_b128 v[48:51], v174, s[0:1] offset:1600
	s_wait_loadcnt_dscnt 0x100
	v_mul_f64_e32 v[24:25], v[46:47], v[40:41]
	v_mul_f64_e32 v[42:43], v[44:45], v[40:41]
	s_delay_alu instid0(VALU_DEP_2) | instskip(NEXT) | instid1(VALU_DEP_2)
	v_fma_f64 v[40:41], v[44:45], v[38:39], -v[24:25]
	v_fma_f64 v[42:43], v[46:47], v[38:39], v[42:43]
	ds_load_b128 v[44:47], v229 offset:1600
	ds_load_b128 v[52:55], v229 offset:2000
	s_wait_loadcnt_dscnt 0x1
	v_mul_f64_e32 v[24:25], v[46:47], v[50:51]
	v_mul_f64_e32 v[38:39], v[44:45], v[50:51]
	s_delay_alu instid0(VALU_DEP_2) | instskip(NEXT) | instid1(VALU_DEP_2)
	v_fma_f64 v[44:45], v[44:45], v[48:49], -v[24:25]
	v_fma_f64 v[46:47], v[46:47], v[48:49], v[38:39]
	s_clause 0x1
	global_load_b128 v[48:51], v174, s[0:1] offset:2000
	global_load_b128 v[56:59], v174, s[0:1] offset:2400
	ds_load_b128 v[60:63], v229 offset:2400
	ds_load_b128 v[64:67], v229 offset:2800
	s_wait_loadcnt_dscnt 0x102
	v_mul_f64_e32 v[24:25], v[54:55], v[50:51]
	v_mul_f64_e32 v[38:39], v[52:53], v[50:51]
	s_delay_alu instid0(VALU_DEP_2) | instskip(SKIP_2) | instid1(VALU_DEP_3)
	v_fma_f64 v[50:51], v[52:53], v[48:49], -v[24:25]
	s_wait_loadcnt_dscnt 0x1
	v_mul_f64_e32 v[24:25], v[62:63], v[58:59]
	v_fma_f64 v[52:53], v[54:55], v[48:49], v[38:39]
	v_mul_f64_e32 v[38:39], v[60:61], v[58:59]
	s_delay_alu instid0(VALU_DEP_3)
	v_fma_f64 v[54:55], v[60:61], v[56:57], -v[24:25]
	s_clause 0x1
	global_load_b128 v[58:61], v174, s[0:1] offset:2800
	global_load_b128 v[68:71], v174, s[0:1] offset:3200
	v_fma_f64 v[56:57], v[62:63], v[56:57], v[38:39]
	s_wait_loadcnt_dscnt 0x100
	v_mul_f64_e32 v[24:25], v[66:67], v[60:61]
	v_mul_f64_e32 v[38:39], v[64:65], v[60:61]
	s_delay_alu instid0(VALU_DEP_2) | instskip(NEXT) | instid1(VALU_DEP_2)
	v_fma_f64 v[60:61], v[64:65], v[58:59], -v[24:25]
	v_fma_f64 v[62:63], v[66:67], v[58:59], v[38:39]
	ds_load_b128 v[64:67], v229 offset:3200
	ds_load_b128 v[76:79], v229 offset:3600
	s_wait_loadcnt_dscnt 0x1
	v_mul_f64_e32 v[24:25], v[66:67], v[70:71]
	v_mul_f64_e32 v[38:39], v[64:65], v[70:71]
	s_delay_alu instid0(VALU_DEP_2) | instskip(NEXT) | instid1(VALU_DEP_2)
	v_fma_f64 v[64:65], v[64:65], v[68:69], -v[24:25]
	v_fma_f64 v[66:67], v[66:67], v[68:69], v[38:39]
	s_clause 0x1
	global_load_b128 v[68:71], v174, s[0:1] offset:3600
	global_load_b128 v[92:95], v174, s[0:1] offset:4000
	s_wait_loadcnt_dscnt 0x100
	v_mul_f64_e32 v[24:25], v[78:79], v[70:71]
	v_mul_f64_e32 v[38:39], v[76:77], v[70:71]
	s_delay_alu instid0(VALU_DEP_2) | instskip(NEXT) | instid1(VALU_DEP_2)
	v_fma_f64 v[76:77], v[76:77], v[68:69], -v[24:25]
	v_fma_f64 v[78:79], v[78:79], v[68:69], v[38:39]
	ds_load_b128 v[68:71], v229 offset:4000
	ds_load_b128 v[96:99], v229 offset:4400
	s_wait_loadcnt_dscnt 0x1
	v_mul_f64_e32 v[24:25], v[70:71], v[94:95]
	v_mul_f64_e32 v[38:39], v[68:69], v[94:95]
	s_delay_alu instid0(VALU_DEP_2) | instskip(NEXT) | instid1(VALU_DEP_2)
	v_fma_f64 v[68:69], v[68:69], v[92:93], -v[24:25]
	v_fma_f64 v[70:71], v[70:71], v[92:93], v[38:39]
	s_clause 0x1
	global_load_b128 v[92:95], v174, s[0:1] offset:4400
	global_load_b128 v[100:103], v174, s[0:1] offset:4800
	ds_load_b128 v[104:107], v229 offset:4800
	ds_load_b128 v[124:127], v229 offset:5200
	s_wait_loadcnt_dscnt 0x102
	v_mul_f64_e32 v[24:25], v[98:99], v[94:95]
	v_mul_f64_e32 v[38:39], v[96:97], v[94:95]
	s_delay_alu instid0(VALU_DEP_2) | instskip(SKIP_2) | instid1(VALU_DEP_3)
	v_fma_f64 v[94:95], v[96:97], v[92:93], -v[24:25]
	s_wait_loadcnt_dscnt 0x1
	v_mul_f64_e32 v[24:25], v[106:107], v[102:103]
	v_fma_f64 v[96:97], v[98:99], v[92:93], v[38:39]
	v_mul_f64_e32 v[38:39], v[104:105], v[102:103]
	s_delay_alu instid0(VALU_DEP_3)
	v_fma_f64 v[98:99], v[104:105], v[100:101], -v[24:25]
	s_clause 0x1
	global_load_b128 v[102:105], v174, s[0:1] offset:5200
	global_load_b128 v[128:131], v174, s[0:1] offset:5600
	v_fma_f64 v[100:101], v[106:107], v[100:101], v[38:39]
	s_wait_loadcnt_dscnt 0x100
	v_mul_f64_e32 v[24:25], v[126:127], v[104:105]
	v_mul_f64_e32 v[38:39], v[124:125], v[104:105]
	s_delay_alu instid0(VALU_DEP_2) | instskip(NEXT) | instid1(VALU_DEP_2)
	v_fma_f64 v[104:105], v[124:125], v[102:103], -v[24:25]
	v_fma_f64 v[106:107], v[126:127], v[102:103], v[38:39]
	ds_load_b128 v[124:127], v229 offset:5600
	ds_load_b128 v[136:139], v229 offset:6000
	s_wait_loadcnt_dscnt 0x1
	v_mul_f64_e32 v[24:25], v[126:127], v[130:131]
	v_mul_f64_e32 v[38:39], v[124:125], v[130:131]
	s_delay_alu instid0(VALU_DEP_2) | instskip(NEXT) | instid1(VALU_DEP_2)
	v_fma_f64 v[124:125], v[124:125], v[128:129], -v[24:25]
	v_fma_f64 v[126:127], v[126:127], v[128:129], v[38:39]
	s_clause 0x1
	global_load_b128 v[128:131], v174, s[0:1] offset:6000
	global_load_b128 v[140:143], v174, s[0:1] offset:6400
	s_wait_loadcnt_dscnt 0x100
	v_mul_f64_e32 v[24:25], v[138:139], v[130:131]
	v_mul_f64_e32 v[38:39], v[136:137], v[130:131]
	s_delay_alu instid0(VALU_DEP_2) | instskip(NEXT) | instid1(VALU_DEP_2)
	v_fma_f64 v[136:137], v[136:137], v[128:129], -v[24:25]
	v_fma_f64 v[138:139], v[138:139], v[128:129], v[38:39]
	ds_load_b128 v[128:131], v229 offset:6400
	s_wait_loadcnt_dscnt 0x0
	v_mul_f64_e32 v[24:25], v[130:131], v[142:143]
	v_mul_f64_e32 v[38:39], v[128:129], v[142:143]
	s_delay_alu instid0(VALU_DEP_2) | instskip(NEXT) | instid1(VALU_DEP_2)
	v_fma_f64 v[128:129], v[128:129], v[140:141], -v[24:25]
	v_fma_f64 v[130:131], v[130:131], v[140:141], v[38:39]
	ds_store_b128 v229, v[26:29]
	ds_store_b128 v229, v[30:33] offset:400
	ds_store_b128 v229, v[34:37] offset:800
	;; [unrolled: 1-line block ×16, first 2 shown]
	s_and_saveexec_b32 s2, vcc_lo
	s_cbranch_execz .LBB0_9
; %bb.8:
	s_wait_alu 0xfffe
	v_add_co_u32 v104, s0, s0, v174
	s_wait_alu 0xf1ff
	v_add_co_ci_u32_e64 v105, null, s1, 0, s0
	s_clause 0x10
	global_load_b128 v[32:35], v[104:105], off offset:272
	global_load_b128 v[24:27], v[104:105], off offset:672
	;; [unrolled: 1-line block ×17, first 2 shown]
	scratch_load_b32 v0, off, off offset:12 ; 4-byte Folded Reload
	s_wait_loadcnt 0x0
	ds_load_b128 v[124:127], v0 offset:272
	s_wait_dscnt 0x0
	v_mul_f64_e32 v[112:113], v[126:127], v[34:35]
	v_mul_f64_e32 v[34:35], v[124:125], v[34:35]
	s_delay_alu instid0(VALU_DEP_2) | instskip(NEXT) | instid1(VALU_DEP_2)
	v_fma_f64 v[124:125], v[124:125], v[32:33], -v[112:113]
	v_fma_f64 v[126:127], v[126:127], v[32:33], v[34:35]
	ds_store_b128 v0, v[124:127] offset:272
	ds_load_b128 v[32:35], v229 offset:672
	ds_load_b128 v[124:127], v229 offset:1072
	;; [unrolled: 1-line block ×8, first 2 shown]
	s_wait_dscnt 0x7
	v_mul_f64_e32 v[120:121], v[34:35], v[26:27]
	v_mul_f64_e32 v[26:27], v[32:33], v[26:27]
	s_wait_dscnt 0x6
	v_mul_f64_e32 v[122:123], v[126:127], v[30:31]
	v_mul_f64_e32 v[144:145], v[124:125], v[30:31]
	;; [unrolled: 3-line block ×5, first 2 shown]
	s_wait_dscnt 0x2
	v_mul_f64_e32 v[152:153], v[174:175], v[50:51]
	s_wait_dscnt 0x0
	v_mul_f64_e32 v[154:155], v[118:119], v[58:59]
	v_mul_f64_e32 v[58:59], v[116:117], v[58:59]
	v_fma_f64 v[30:31], v[32:33], v[24:25], -v[120:121]
	v_fma_f64 v[32:33], v[34:35], v[24:25], v[26:27]
	v_fma_f64 v[24:25], v[124:125], v[28:29], -v[122:123]
	v_fma_f64 v[26:27], v[126:127], v[28:29], v[144:145]
	ds_load_b128 v[124:127], v229 offset:3872
	ds_load_b128 v[120:123], v229 offset:4272
	v_mul_f64_e32 v[28:29], v[172:173], v[50:51]
	v_mul_f64_e32 v[50:51], v[114:115], v[54:55]
	;; [unrolled: 1-line block ×3, first 2 shown]
	v_fma_f64 v[34:35], v[128:129], v[36:37], -v[146:147]
	v_fma_f64 v[36:37], v[130:131], v[36:37], v[38:39]
	v_fma_f64 v[38:39], v[136:137], v[40:41], -v[148:149]
	v_fma_f64 v[40:41], v[138:139], v[40:41], v[42:43]
	ds_load_b128 v[128:131], v229 offset:4672
	ds_load_b128 v[136:139], v229 offset:5072
	v_fma_f64 v[42:43], v[140:141], v[44:45], -v[150:151]
	v_fma_f64 v[44:45], v[142:143], v[44:45], v[46:47]
	v_fma_f64 v[46:47], v[172:173], v[48:49], -v[152:153]
	s_wait_dscnt 0x3
	v_mul_f64_e32 v[148:149], v[126:127], v[62:63]
	v_mul_f64_e32 v[62:63], v[124:125], v[62:63]
	s_wait_dscnt 0x2
	v_mul_f64_e32 v[156:157], v[122:123], v[66:67]
	v_mul_f64_e32 v[66:67], v[120:121], v[66:67]
	v_fma_f64 v[48:49], v[174:175], v[48:49], v[28:29]
	ds_load_b128 v[140:143], v229 offset:5472
	ds_load_b128 v[172:175], v229 offset:5872
	v_fma_f64 v[50:51], v[112:113], v[52:53], -v[50:51]
	v_fma_f64 v[52:53], v[114:115], v[52:53], v[54:55]
	ds_load_b128 v[112:115], v229 offset:6272
	ds_load_b128 v[144:147], v229 offset:6672
	s_wait_dscnt 0x5
	v_mul_f64_e32 v[28:29], v[130:131], v[70:71]
	v_mul_f64_e32 v[70:71], v[128:129], v[70:71]
	v_fma_f64 v[54:55], v[116:117], v[56:57], -v[154:155]
	s_wait_dscnt 0x4
	v_mul_f64_e32 v[116:117], v[138:139], v[78:79]
	v_mul_f64_e32 v[78:79], v[136:137], v[78:79]
	v_fma_f64 v[56:57], v[118:119], v[56:57], v[58:59]
	v_fma_f64 v[58:59], v[124:125], v[60:61], -v[148:149]
	v_fma_f64 v[60:61], v[126:127], v[60:61], v[62:63]
	s_wait_dscnt 0x3
	v_mul_f64_e32 v[124:125], v[142:143], v[94:95]
	v_mul_f64_e32 v[94:95], v[140:141], v[94:95]
	s_wait_dscnt 0x2
	v_mul_f64_e32 v[126:127], v[174:175], v[98:99]
	v_mul_f64_e32 v[98:99], v[172:173], v[98:99]
	v_fma_f64 v[62:63], v[120:121], v[64:65], -v[156:157]
	s_wait_dscnt 0x1
	v_mul_f64_e32 v[120:121], v[114:115], v[102:103]
	v_mul_f64_e32 v[102:103], v[112:113], v[102:103]
	v_fma_f64 v[64:65], v[122:123], v[64:65], v[66:67]
	s_wait_dscnt 0x0
	v_mul_f64_e32 v[122:123], v[146:147], v[106:107]
	v_mul_f64_e32 v[106:107], v[144:145], v[106:107]
	v_fma_f64 v[66:67], v[128:129], v[68:69], -v[28:29]
	v_fma_f64 v[68:69], v[130:131], v[68:69], v[70:71]
	v_fma_f64 v[116:117], v[136:137], v[76:77], -v[116:117]
	v_fma_f64 v[118:119], v[138:139], v[76:77], v[78:79]
	;; [unrolled: 2-line block ×6, first 2 shown]
	ds_store_b128 v229, v[30:33] offset:672
	ds_store_b128 v229, v[24:27] offset:1072
	;; [unrolled: 1-line block ×16, first 2 shown]
.LBB0_9:
	s_wait_alu 0xfffe
	s_or_b32 exec_lo, exec_lo, s2
	global_wb scope:SCOPE_SE
	s_wait_dscnt 0x0
	s_barrier_signal -1
	s_barrier_wait -1
	global_inv scope:SCOPE_SE
	ds_load_b128 v[24:27], v229
	ds_load_b128 v[128:131], v229 offset:400
	ds_load_b128 v[124:127], v229 offset:800
	;; [unrolled: 1-line block ×16, first 2 shown]
	scratch_store_b32 off, v229, off offset:168 ; 4-byte Folded Spill
	s_and_saveexec_b32 s0, vcc_lo
	s_cbranch_execz .LBB0_11
; %bb.10:
	scratch_load_b32 v4, off, off offset:12 ; 4-byte Folded Reload
	s_wait_loadcnt 0x0
	ds_load_b128 v[0:3], v4 offset:272
	s_wait_dscnt 0x0
	scratch_store_b128 off, v[0:3], off offset:1060 ; 16-byte Folded Spill
	ds_load_b128 v[0:3], v4 offset:672
	s_wait_dscnt 0x0
	scratch_store_b128 off, v[0:3], off offset:1092 ; 16-byte Folded Spill
	;; [unrolled: 3-line block ×17, first 2 shown]
.LBB0_11:
	s_wait_alu 0xfffe
	s_or_b32 exec_lo, exec_lo, s0
	s_wait_dscnt 0xf
	v_add_f64_e32 v[76:77], v[24:25], v[128:129]
	v_add_f64_e32 v[78:79], v[26:27], v[130:131]
	s_wait_dscnt 0x0
	v_add_f64_e64 v[112:113], v[130:131], -v[30:31]
	s_mov_b32 s8, 0x5d8e7cdc
	s_mov_b32 s9, 0xbfd71e95
	;; [unrolled: 1-line block ×4, first 2 shown]
	v_add_f64_e64 v[172:173], v[128:129], -v[28:29]
	v_add_f64_e32 v[140:141], v[124:125], v[100:101]
	v_add_f64_e64 v[174:175], v[98:99], -v[106:107]
	v_add_f64_e32 v[138:139], v[60:61], v[68:69]
	s_mov_b32 s34, 0x2a9d6da3
	s_mov_b32 s35, 0xbfe58eea
	;; [unrolled: 1-line block ×3, first 2 shown]
	s_wait_alu 0xfffe
	s_mov_b32 s42, s8
	s_mov_b32 s2, 0x75d4884
	;; [unrolled: 1-line block ×3, first 2 shown]
	v_add_f64_e32 v[136:137], v[126:127], v[102:103]
	v_add_f64_e64 v[142:143], v[126:127], -v[102:103]
	s_mov_b32 s36, 0x7c9e640b
	s_mov_b32 s37, 0xbfeca52d
	;; [unrolled: 1-line block ×9, first 2 shown]
	s_wait_alu 0xfffe
	s_mov_b32 s46, s36
	s_mov_b32 s26, 0x3259b75e
	;; [unrolled: 1-line block ×10, first 2 shown]
	v_add_f64_e32 v[76:77], v[76:77], v[124:125]
	v_add_f64_e32 v[78:79], v[78:79], v[126:127]
	v_mul_f64_e32 v[114:115], s[8:9], v[112:113]
	v_mul_f64_e32 v[116:117], s[34:35], v[112:113]
	v_add_f64_e32 v[126:127], v[96:97], v[104:105]
	v_mul_f64_e32 v[118:119], s[36:37], v[112:113]
	v_mul_f64_e32 v[120:121], s[28:29], v[112:113]
	s_wait_alu 0xfffe
	v_mul_f64_e32 v[122:123], s[38:39], v[112:113]
	s_mov_b32 s25, 0xbfe9895b
	s_mov_b32 s51, 0x3feec746
	;; [unrolled: 1-line block ×9, first 2 shown]
	s_wait_alu 0xfffe
	v_mul_f64_e32 v[144:145], s[20:21], v[112:113]
	s_mov_b32 s14, 0x910ea3b9
	s_mov_b32 s12, 0x7faef3
	;; [unrolled: 1-line block ×9, first 2 shown]
	v_mul_f64_e32 v[196:197], s[34:35], v[142:143]
	v_mul_f64_e32 v[212:213], s[28:29], v[142:143]
	;; [unrolled: 1-line block ×8, first 2 shown]
	v_add_f64_e32 v[76:77], v[76:77], v[96:97]
	v_add_f64_e32 v[78:79], v[78:79], v[98:99]
	v_fma_f64 v[186:187], v[140:141], s[18:19], v[248:249]
	v_fma_f64 v[248:249], v[140:141], s[18:19], -v[248:249]
	v_fma_f64 v[232:233], v[126:127], s[26:27], v[210:211]
	v_fma_f64 v[210:211], v[126:127], s[26:27], -v[210:211]
	v_add_f64_e32 v[76:77], v[76:77], v[60:61]
	v_add_f64_e32 v[78:79], v[78:79], v[62:63]
	s_delay_alu instid0(VALU_DEP_2) | instskip(NEXT) | instid1(VALU_DEP_2)
	v_add_f64_e32 v[76:77], v[76:77], v[52:53]
	v_add_f64_e32 v[78:79], v[78:79], v[54:55]
	s_delay_alu instid0(VALU_DEP_2) | instskip(NEXT) | instid1(VALU_DEP_2)
	;; [unrolled: 3-line block ×9, first 2 shown]
	v_add_f64_e32 v[92:93], v[76:77], v[68:69]
	v_add_f64_e32 v[94:95], v[78:79], v[70:71]
	;; [unrolled: 1-line block ×4, first 2 shown]
	v_add_f64_e64 v[128:129], v[124:125], -v[100:101]
	v_add_f64_e32 v[124:125], v[98:99], v[106:107]
	v_add_f64_e32 v[130:131], v[62:63], v[70:71]
	v_add_f64_e64 v[98:99], v[54:55], -v[66:67]
	v_add_f64_e32 v[92:93], v[92:93], v[104:105]
	v_add_f64_e32 v[94:95], v[94:95], v[106:107]
	v_add_f64_e64 v[106:107], v[60:61], -v[68:69]
	v_add_f64_e32 v[68:69], v[54:55], v[66:67]
	v_add_f64_e64 v[66:67], v[32:33], -v[36:37]
	v_fma_f64 v[146:147], v[78:79], s[0:1], v[114:115]
	v_fma_f64 v[114:115], v[78:79], s[0:1], -v[114:115]
	v_add_f64_e64 v[104:105], v[96:97], -v[104:105]
	v_add_f64_e32 v[96:97], v[52:53], v[64:65]
	v_add_f64_e32 v[54:55], v[48:49], v[56:57]
	;; [unrolled: 1-line block ×3, first 2 shown]
	v_fma_f64 v[148:149], v[78:79], s[2:3], v[116:117]
	v_fma_f64 v[116:117], v[78:79], s[2:3], -v[116:117]
	v_fma_f64 v[150:151], v[78:79], s[18:19], v[118:119]
	v_fma_f64 v[118:119], v[78:79], s[18:19], -v[118:119]
	;; [unrolled: 2-line block ×4, first 2 shown]
	v_mul_f64_e32 v[198:199], s[18:19], v[124:125]
	v_mul_f64_e32 v[202:203], s[26:27], v[130:131]
	;; [unrolled: 1-line block ×4, first 2 shown]
	s_wait_alu 0xfffe
	v_mul_f64_e32 v[222:223], s[12:13], v[130:131]
	v_mul_f64_e32 v[224:225], s[52:53], v[98:99]
	;; [unrolled: 1-line block ×8, first 2 shown]
	v_fma_f64 v[194:195], v[128:129], s[28:29], v[214:215]
	v_fma_f64 v[190:191], v[128:129], s[36:37], v[180:181]
	v_fma_f64 v[180:181], v[128:129], s[46:47], v[180:181]
	v_mul_f64_e32 v[108:109], s[26:27], v[124:125]
	v_add_f64_e32 v[92:93], v[92:93], v[100:101]
	v_add_f64_e32 v[94:95], v[94:95], v[102:103]
	v_add_f64_e64 v[100:101], v[62:63], -v[70:71]
	v_add_f64_e32 v[70:71], v[32:33], v[36:37]
	v_mul_f64_e32 v[32:33], s[0:1], v[76:77]
	v_add_f64_e64 v[62:63], v[52:53], -v[64:65]
	v_add_f64_e64 v[52:53], v[48:49], -v[56:57]
	;; [unrolled: 1-line block ×4, first 2 shown]
	v_add_f64_e32 v[58:59], v[34:35], v[38:39]
	v_mul_f64_e32 v[34:35], s[2:3], v[76:77]
	v_mul_f64_e32 v[36:37], s[18:19], v[76:77]
	;; [unrolled: 1-line block ×3, first 2 shown]
	v_add_f64_e32 v[48:49], v[42:43], v[46:47]
	v_add_f64_e64 v[50:51], v[42:43], -v[46:47]
	v_add_f64_e32 v[46:47], v[40:41], v[44:45]
	v_add_f64_e64 v[44:45], v[40:41], -v[44:45]
	v_mul_f64_e32 v[40:41], s[30:31], v[76:77]
	v_mul_f64_e32 v[102:103], s[24:25], v[112:113]
	;; [unrolled: 1-line block ×4, first 2 shown]
	v_add_f64_e32 v[134:135], v[24:25], v[146:147]
	v_add_f64_e32 v[150:151], v[24:25], v[150:151]
	;; [unrolled: 1-line block ×4, first 2 shown]
	v_mul_f64_e32 v[206:207], s[30:31], v[68:69]
	v_mul_f64_e32 v[226:227], s[14:15], v[68:69]
	;; [unrolled: 1-line block ×3, first 2 shown]
	v_fma_f64 v[14:15], v[104:105], s[38:39], v[12:13]
	v_mul_f64_e32 v[74:75], s[14:15], v[60:61]
	v_fma_f64 v[90:91], v[104:105], s[34:35], v[88:89]
	v_fma_f64 v[12:13], v[104:105], s[50:51], v[12:13]
	;; [unrolled: 1-line block ×5, first 2 shown]
	v_add_f64_e32 v[0:1], v[92:93], v[28:29]
	v_add_f64_e32 v[2:3], v[94:95], v[30:31]
	v_mul_f64_e32 v[200:201], s[28:29], v[100:101]
	v_mul_f64_e32 v[220:221], s[22:23], v[100:101]
	v_fma_f64 v[158:159], v[172:173], s[42:43], v[32:33]
	v_fma_f64 v[32:33], v[172:173], s[8:9], v[32:33]
	v_mul_f64_e32 v[240:241], s[50:51], v[100:101]
	v_mul_f64_e32 v[192:193], s[24:25], v[56:57]
	;; [unrolled: 1-line block ×4, first 2 shown]
	v_fma_f64 v[160:161], v[172:173], s[40:41], v[34:35]
	v_fma_f64 v[34:35], v[172:173], s[34:35], v[34:35]
	;; [unrolled: 1-line block ×6, first 2 shown]
	v_mul_f64_e32 v[234:235], s[20:21], v[50:51]
	v_fma_f64 v[166:167], v[172:173], s[50:51], v[40:41]
	v_fma_f64 v[40:41], v[172:173], s[38:39], v[40:41]
	v_fma_f64 v[94:95], v[78:79], s[16:17], -v[102:103]
	v_fma_f64 v[92:93], v[78:79], s[16:17], v[102:103]
	v_fma_f64 v[102:103], v[78:79], s[14:15], v[144:145]
	v_fma_f64 v[144:145], v[78:79], s[14:15], -v[144:145]
	v_fma_f64 v[156:157], v[78:79], s[12:13], v[112:113]
	v_fma_f64 v[78:79], v[78:79], s[12:13], -v[112:113]
	v_mul_f64_e32 v[112:113], s[14:15], v[76:77]
	v_fma_f64 v[168:169], v[172:173], s[44:45], v[42:43]
	v_fma_f64 v[42:43], v[172:173], s[24:25], v[42:43]
	v_mul_f64_e32 v[76:77], s[12:13], v[76:77]
	v_mul_f64_e32 v[182:183], s[14:15], v[48:49]
	v_mul_f64_e32 v[28:29], s[18:19], v[68:69]
	v_mul_f64_e32 v[72:73], s[20:21], v[56:57]
	v_mul_f64_e32 v[80:81], s[44:45], v[50:51]
	v_mul_f64_e32 v[110:111], s[16:17], v[48:49]
	v_mul_f64_e32 v[30:31], s[48:49], v[56:57]
	v_mul_f64_e32 v[84:85], s[40:41], v[64:65]
	scratch_store_b128 off, v[0:3], off offset:1188 ; 16-byte Folded Spill
	v_add_f64_e32 v[0:1], v[24:25], v[114:115]
	v_add_f64_e32 v[146:147], v[26:27], v[158:159]
	v_mul_f64_e32 v[158:159], s[14:15], v[58:59]
	v_fma_f64 v[18:19], v[138:139], s[0:1], v[16:17]
	v_add_f64_e32 v[114:115], v[26:27], v[160:161]
	v_fma_f64 v[16:17], v[138:139], s[0:1], -v[16:17]
	v_add_f64_e32 v[160:161], v[26:27], v[162:163]
	v_add_f64_e32 v[164:165], v[26:27], v[164:165]
	;; [unrolled: 1-line block ×5, first 2 shown]
	v_mul_f64_e32 v[92:93], s[28:29], v[50:51]
	v_mul_f64_e32 v[102:103], s[26:27], v[48:49]
	v_fma_f64 v[170:171], v[172:173], s[52:53], v[112:113]
	v_fma_f64 v[112:113], v[172:173], s[20:21], v[112:113]
	v_add_f64_e32 v[4:5], v[26:27], v[168:169]
	v_fma_f64 v[132:133], v[172:173], s[54:55], v[76:77]
	v_fma_f64 v[76:77], v[172:173], s[22:23], v[76:77]
	v_mul_f64_e32 v[172:173], s[16:17], v[60:61]
	scratch_store_b64 off, v[0:1], off offset:1260 ; 8-byte Folded Spill
	v_add_f64_e32 v[0:1], v[26:27], v[32:33]
	v_add_f64_e32 v[32:33], v[24:25], v[148:149]
	v_mul_f64_e32 v[148:149], s[30:31], v[60:61]
	v_add_f64_e32 v[186:187], v[186:187], v[8:9]
	v_fma_f64 v[2:3], v[46:47], s[26:27], v[92:93]
	v_fma_f64 v[6:7], v[44:45], s[48:49], v[102:103]
	scratch_store_b64 off, v[0:1], off offset:1268 ; 8-byte Folded Spill
	v_add_f64_e32 v[0:1], v[24:25], v[116:117]
	scratch_store_b64 off, v[0:1], off offset:1276 ; 8-byte Folded Spill
	v_add_f64_e32 v[0:1], v[26:27], v[34:35]
	;; [unrolled: 2-line block ×4, first 2 shown]
	v_fma_f64 v[36:37], v[126:127], s[16:17], v[216:217]
	v_fma_f64 v[216:217], v[126:127], s[16:17], -v[216:217]
	scratch_store_b64 off, v[0:1], off offset:1300 ; 8-byte Folded Spill
	v_add_f64_e32 v[0:1], v[24:25], v[120:121]
	scratch_store_b64 off, v[0:1], off offset:1308 ; 8-byte Folded Spill
	v_add_f64_e32 v[0:1], v[26:27], v[38:39]
	;; [unrolled: 2-line block ×5, first 2 shown]
	v_mul_f64_e32 v[94:95], s[2:3], v[58:59]
	scratch_store_b64 off, v[0:1], off offset:1340 ; 8-byte Folded Spill
	v_add_f64_e32 v[0:1], v[26:27], v[42:43]
	scratch_store_b64 off, v[0:1], off offset:1348 ; 8-byte Folded Spill
	v_add_f64_e32 v[0:1], v[26:27], v[170:171]
	;; [unrolled: 2-line block ×3, first 2 shown]
	v_mul_f64_e32 v[144:145], s[18:19], v[48:49]
	scratch_store_b64 off, v[0:1], off offset:1356 ; 8-byte Folded Spill
	v_add_f64_e32 v[0:1], v[26:27], v[112:113]
	scratch_store_b64 off, v[0:1], off offset:1364 ; 8-byte Folded Spill
	v_add_f64_e32 v[0:1], v[24:25], v[156:157]
	v_mul_f64_e32 v[156:157], s[20:21], v[64:65]
	scratch_store_b64 off, v[0:1], off offset:1372 ; 8-byte Folded Spill
	v_add_f64_e32 v[0:1], v[26:27], v[132:133]
	v_mul_f64_e32 v[132:133], s[46:47], v[50:51]
	v_fma_f64 v[10:11], v[70:71], s[14:15], v[156:157]
	scratch_store_b64 off, v[0:1], off offset:1236 ; 8-byte Folded Spill
	v_add_f64_e32 v[0:1], v[24:25], v[78:79]
	v_fma_f64 v[24:25], v[140:141], s[2:3], v[196:197]
	v_mul_f64_e32 v[78:79], s[0:1], v[60:61]
	v_fma_f64 v[196:197], v[140:141], s[2:3], -v[196:197]
	scratch_store_b64 off, v[0:1], off offset:1244 ; 8-byte Folded Spill
	v_add_f64_e32 v[24:25], v[24:25], v[134:135]
	v_mul_f64_e32 v[134:135], s[2:3], v[136:137]
	v_add_f64_e32 v[0:1], v[26:27], v[76:77]
	v_mul_f64_e32 v[76:77], s[8:9], v[56:57]
	s_delay_alu instid0(VALU_DEP_3)
	v_fma_f64 v[26:27], v[128:129], s[40:41], v[134:135]
	scratch_store_b64 off, v[0:1], off offset:1252 ; 8-byte Folded Spill
	v_mul_f64_e32 v[0:1], s[22:23], v[64:65]
	v_fma_f64 v[134:135], v[128:129], s[34:35], v[134:135]
	v_add_f64_e32 v[26:27], v[26:27], v[146:147]
	v_mul_f64_e32 v[146:147], s[36:37], v[174:175]
	scratch_store_b64 off, v[0:1], off offset:1212 ; 8-byte Folded Spill
	v_fma_f64 v[34:35], v[126:127], s[18:19], v[146:147]
	v_fma_f64 v[146:147], v[126:127], s[18:19], -v[146:147]
	s_delay_alu instid0(VALU_DEP_2) | instskip(SKIP_2) | instid1(VALU_DEP_2)
	v_add_f64_e32 v[24:25], v[34:35], v[24:25]
	v_fma_f64 v[34:35], v[104:105], s[46:47], v[198:199]
	v_fma_f64 v[198:199], v[104:105], s[36:37], v[198:199]
	v_add_f64_e32 v[26:27], v[34:35], v[26:27]
	v_fma_f64 v[34:35], v[138:139], s[26:27], v[200:201]
	v_fma_f64 v[200:201], v[138:139], s[26:27], -v[200:201]
	s_delay_alu instid0(VALU_DEP_2) | instskip(SKIP_2) | instid1(VALU_DEP_2)
	v_add_f64_e32 v[24:25], v[34:35], v[24:25]
	v_fma_f64 v[34:35], v[106:107], s[48:49], v[202:203]
	v_fma_f64 v[202:203], v[106:107], s[28:29], v[202:203]
	v_add_f64_e32 v[26:27], v[34:35], v[26:27]
	v_fma_f64 v[34:35], v[96:97], s[30:31], v[204:205]
	v_fma_f64 v[204:205], v[96:97], s[30:31], -v[204:205]
	s_delay_alu instid0(VALU_DEP_2) | instskip(SKIP_1) | instid1(VALU_DEP_1)
	v_add_f64_e32 v[24:25], v[34:35], v[24:25]
	v_fma_f64 v[34:35], v[62:63], s[50:51], v[206:207]
	v_add_f64_e32 v[26:27], v[34:35], v[26:27]
	v_fma_f64 v[34:35], v[54:55], s[16:17], v[192:193]
	s_delay_alu instid0(VALU_DEP_1) | instskip(SKIP_1) | instid1(VALU_DEP_1)
	v_add_f64_e32 v[24:25], v[34:35], v[24:25]
	v_fma_f64 v[34:35], v[52:53], s[44:45], v[172:173]
	v_add_f64_e32 v[26:27], v[34:35], v[26:27]
	v_fma_f64 v[34:35], v[46:47], s[14:15], v[234:235]
	s_delay_alu instid0(VALU_DEP_1) | instskip(SKIP_1) | instid1(VALU_DEP_1)
	v_add_f64_e32 v[24:25], v[34:35], v[24:25]
	v_fma_f64 v[34:35], v[44:45], s[52:53], v[182:183]
	v_add_f64_e32 v[26:27], v[34:35], v[26:27]
	v_fma_f64 v[34:35], v[70:71], s[12:13], v[0:1]
	v_mul_f64_e32 v[0:1], s[12:13], v[58:59]
	s_delay_alu instid0(VALU_DEP_2) | instskip(NEXT) | instid1(VALU_DEP_2)
	v_add_f64_e32 v[168:169], v[34:35], v[24:25]
	v_fma_f64 v[34:35], v[66:67], s[54:55], v[0:1]
	scratch_store_b64 off, v[0:1], off offset:1204 ; 8-byte Folded Spill
	v_mul_f64_e32 v[0:1], s[42:43], v[64:65]
	v_mul_f64_e32 v[24:25], s[36:37], v[98:99]
	v_add_f64_e32 v[170:171], v[34:35], v[26:27]
	v_fma_f64 v[34:35], v[140:141], s[26:27], v[212:213]
	scratch_store_b64 off, v[0:1], off offset:1228 ; 8-byte Folded Spill
	v_fma_f64 v[22:23], v[96:97], s[18:19], v[24:25]
	v_mul_f64_e32 v[26:27], s[12:13], v[68:69]
	v_fma_f64 v[212:213], v[140:141], s[26:27], -v[212:213]
	v_fma_f64 v[24:25], v[96:97], s[18:19], -v[24:25]
	v_add_f64_e32 v[32:33], v[34:35], v[32:33]
	v_fma_f64 v[34:35], v[128:129], s[48:49], v[214:215]
	s_delay_alu instid0(VALU_DEP_2) | instskip(NEXT) | instid1(VALU_DEP_2)
	v_add_f64_e32 v[32:33], v[36:37], v[32:33]
	v_add_f64_e32 v[34:35], v[34:35], v[114:115]
	v_fma_f64 v[36:37], v[104:105], s[44:45], v[218:219]
	v_fma_f64 v[218:219], v[104:105], s[24:25], v[218:219]
	s_delay_alu instid0(VALU_DEP_2) | instskip(SKIP_2) | instid1(VALU_DEP_2)
	v_add_f64_e32 v[34:35], v[36:37], v[34:35]
	v_fma_f64 v[36:37], v[138:139], s[12:13], v[220:221]
	v_fma_f64 v[220:221], v[138:139], s[12:13], -v[220:221]
	v_add_f64_e32 v[32:33], v[36:37], v[32:33]
	v_fma_f64 v[36:37], v[106:107], s[54:55], v[222:223]
	v_fma_f64 v[222:223], v[106:107], s[22:23], v[222:223]
	s_delay_alu instid0(VALU_DEP_2) | instskip(SKIP_2) | instid1(VALU_DEP_2)
	v_add_f64_e32 v[34:35], v[36:37], v[34:35]
	v_fma_f64 v[36:37], v[96:97], s[14:15], v[224:225]
	v_fma_f64 v[224:225], v[96:97], s[14:15], -v[224:225]
	v_add_f64_e32 v[32:33], v[36:37], v[32:33]
	v_fma_f64 v[36:37], v[62:63], s[20:21], v[226:227]
	s_delay_alu instid0(VALU_DEP_1) | instskip(SKIP_1) | instid1(VALU_DEP_1)
	v_add_f64_e32 v[34:35], v[36:37], v[34:35]
	v_fma_f64 v[36:37], v[54:55], s[30:31], v[178:179]
	v_add_f64_e32 v[32:33], v[36:37], v[32:33]
	v_fma_f64 v[36:37], v[52:53], s[38:39], v[148:149]
	s_delay_alu instid0(VALU_DEP_1) | instskip(SKIP_1) | instid1(VALU_DEP_1)
	v_add_f64_e32 v[34:35], v[36:37], v[34:35]
	v_fma_f64 v[36:37], v[46:47], s[18:19], v[132:133]
	v_add_f64_e32 v[32:33], v[36:37], v[32:33]
	v_fma_f64 v[36:37], v[44:45], s[36:37], v[144:145]
	s_delay_alu instid0(VALU_DEP_1) | instskip(SKIP_2) | instid1(VALU_DEP_2)
	v_add_f64_e32 v[34:35], v[36:37], v[34:35]
	v_fma_f64 v[36:37], v[70:71], s[0:1], v[0:1]
	v_mul_f64_e32 v[0:1], s[0:1], v[58:59]
	v_add_f64_e32 v[120:121], v[36:37], v[32:33]
	s_delay_alu instid0(VALU_DEP_2)
	v_fma_f64 v[36:37], v[66:67], s[8:9], v[0:1]
	scratch_store_b64 off, v[0:1], off offset:1220 ; 8-byte Folded Spill
	v_mul_f64_e32 v[0:1], s[36:37], v[100:101]
	v_mul_f64_e32 v[32:33], s[26:27], v[60:61]
	v_add_f64_e32 v[122:123], v[36:37], v[34:35]
	v_fma_f64 v[36:37], v[140:141], s[16:17], v[236:237]
	v_mul_f64_e32 v[34:35], s[8:9], v[50:51]
	v_fma_f64 v[236:237], v[140:141], s[16:17], -v[236:237]
	s_delay_alu instid0(VALU_DEP_3) | instskip(SKIP_1) | instid1(VALU_DEP_1)
	v_add_f64_e32 v[36:37], v[36:37], v[150:151]
	v_mul_f64_e32 v[150:151], s[16:17], v[136:137]
	v_fma_f64 v[38:39], v[128:129], s[44:45], v[150:151]
	v_fma_f64 v[150:151], v[128:129], s[24:25], v[150:151]
	s_delay_alu instid0(VALU_DEP_2) | instskip(SKIP_1) | instid1(VALU_DEP_1)
	v_add_f64_e32 v[38:39], v[38:39], v[160:161]
	v_mul_f64_e32 v[160:161], s[54:55], v[174:175]
	v_fma_f64 v[40:41], v[126:127], s[12:13], v[160:161]
	v_fma_f64 v[160:161], v[126:127], s[12:13], -v[160:161]
	s_delay_alu instid0(VALU_DEP_2) | instskip(SKIP_2) | instid1(VALU_DEP_2)
	v_add_f64_e32 v[36:37], v[40:41], v[36:37]
	v_fma_f64 v[40:41], v[104:105], s[22:23], v[238:239]
	v_fma_f64 v[238:239], v[104:105], s[54:55], v[238:239]
	v_add_f64_e32 v[38:39], v[40:41], v[38:39]
	v_fma_f64 v[40:41], v[138:139], s[30:31], v[240:241]
	v_fma_f64 v[240:241], v[138:139], s[30:31], -v[240:241]
	s_delay_alu instid0(VALU_DEP_2) | instskip(SKIP_2) | instid1(VALU_DEP_2)
	v_add_f64_e32 v[36:37], v[40:41], v[36:37]
	v_fma_f64 v[40:41], v[106:107], s[38:39], v[242:243]
	v_fma_f64 v[242:243], v[106:107], s[50:51], v[242:243]
	v_add_f64_e32 v[38:39], v[40:41], v[38:39]
	v_fma_f64 v[40:41], v[96:97], s[2:3], v[244:245]
	v_fma_f64 v[244:245], v[96:97], s[2:3], -v[244:245]
	s_delay_alu instid0(VALU_DEP_2) | instskip(SKIP_1) | instid1(VALU_DEP_1)
	v_add_f64_e32 v[36:37], v[40:41], v[36:37]
	v_fma_f64 v[40:41], v[62:63], s[34:35], v[246:247]
	v_add_f64_e32 v[38:39], v[40:41], v[38:39]
	v_fma_f64 v[40:41], v[54:55], s[0:1], v[76:77]
	v_fma_f64 v[76:77], v[54:55], s[0:1], -v[76:77]
	s_delay_alu instid0(VALU_DEP_2) | instskip(SKIP_2) | instid1(VALU_DEP_3)
	v_add_f64_e32 v[36:37], v[40:41], v[36:37]
	v_fma_f64 v[40:41], v[52:53], s[42:43], v[78:79]
	v_fma_f64 v[78:79], v[52:53], s[8:9], v[78:79]
	v_add_f64_e32 v[2:3], v[2:3], v[36:37]
	s_delay_alu instid0(VALU_DEP_3) | instskip(SKIP_1) | instid1(VALU_DEP_3)
	v_add_f64_e32 v[38:39], v[40:41], v[38:39]
	v_mul_f64_e32 v[36:37], s[0:1], v[48:49]
	v_add_f64_e32 v[116:117], v[10:11], v[2:3]
	s_delay_alu instid0(VALU_DEP_3) | instskip(SKIP_2) | instid1(VALU_DEP_2)
	v_add_f64_e32 v[6:7], v[6:7], v[38:39]
	v_fma_f64 v[10:11], v[66:67], s[52:53], v[158:159]
	v_mul_f64_e32 v[38:39], s[24:25], v[64:65]
	v_add_f64_e32 v[118:119], v[10:11], v[6:7]
	v_mul_f64_e32 v[6:7], s[22:23], v[142:143]
	s_delay_alu instid0(VALU_DEP_1) | instskip(SKIP_1) | instid1(VALU_DEP_2)
	v_fma_f64 v[10:11], v[140:141], s[12:13], v[6:7]
	v_fma_f64 v[6:7], v[140:141], s[12:13], -v[6:7]
	v_add_f64_e32 v[10:11], v[10:11], v[152:153]
	v_mul_f64_e32 v[152:153], s[12:13], v[136:137]
	s_delay_alu instid0(VALU_DEP_1) | instskip(SKIP_1) | instid1(VALU_DEP_2)
	v_fma_f64 v[40:41], v[128:129], s[54:55], v[152:153]
	v_fma_f64 v[152:153], v[128:129], s[22:23], v[152:153]
	v_add_f64_e32 v[40:41], v[40:41], v[164:165]
	v_mul_f64_e32 v[164:165], s[50:51], v[174:175]
	s_delay_alu instid0(VALU_DEP_2) | instskip(NEXT) | instid1(VALU_DEP_2)
	v_add_f64_e32 v[14:15], v[14:15], v[40:41]
	v_fma_f64 v[42:43], v[126:127], s[30:31], v[164:165]
	v_fma_f64 v[164:165], v[126:127], s[30:31], -v[164:165]
	s_delay_alu instid0(VALU_DEP_2) | instskip(SKIP_1) | instid1(VALU_DEP_2)
	v_add_f64_e32 v[10:11], v[42:43], v[10:11]
	v_fma_f64 v[42:43], v[66:67], s[34:35], v[94:95]
	v_add_f64_e32 v[10:11], v[18:19], v[10:11]
	v_mul_f64_e32 v[18:19], s[0:1], v[130:131]
	s_delay_alu instid0(VALU_DEP_2) | instskip(NEXT) | instid1(VALU_DEP_2)
	v_add_f64_e32 v[10:11], v[22:23], v[10:11]
	v_fma_f64 v[40:41], v[106:107], s[8:9], v[18:19]
	v_mul_f64_e32 v[22:23], s[22:23], v[98:99]
	v_fma_f64 v[18:19], v[106:107], s[42:43], v[18:19]
	s_delay_alu instid0(VALU_DEP_3) | instskip(SKIP_2) | instid1(VALU_DEP_2)
	v_add_f64_e32 v[14:15], v[40:41], v[14:15]
	v_fma_f64 v[40:41], v[62:63], s[46:47], v[28:29]
	v_fma_f64 v[28:29], v[62:63], s[36:37], v[28:29]
	v_add_f64_e32 v[14:15], v[40:41], v[14:15]
	v_fma_f64 v[40:41], v[54:55], s[14:15], v[72:73]
	v_fma_f64 v[72:73], v[54:55], s[14:15], -v[72:73]
	s_delay_alu instid0(VALU_DEP_2) | instskip(SKIP_2) | instid1(VALU_DEP_2)
	v_add_f64_e32 v[10:11], v[40:41], v[10:11]
	v_fma_f64 v[40:41], v[52:53], s[52:53], v[74:75]
	v_fma_f64 v[74:75], v[52:53], s[20:21], v[74:75]
	v_add_f64_e32 v[14:15], v[40:41], v[14:15]
	v_fma_f64 v[40:41], v[46:47], s[16:17], v[80:81]
	s_delay_alu instid0(VALU_DEP_1) | instskip(SKIP_1) | instid1(VALU_DEP_1)
	v_add_f64_e32 v[10:11], v[40:41], v[10:11]
	v_fma_f64 v[40:41], v[44:45], s[24:25], v[110:111]
	v_add_f64_e32 v[14:15], v[40:41], v[14:15]
	v_fma_f64 v[40:41], v[70:71], s[2:3], v[84:85]
	s_delay_alu instid0(VALU_DEP_2) | instskip(SKIP_1) | instid1(VALU_DEP_3)
	v_add_f64_e32 v[42:43], v[42:43], v[14:15]
	v_mul_f64_e32 v[14:15], s[52:53], v[142:143]
	v_add_f64_e32 v[40:41], v[40:41], v[10:11]
	v_fma_f64 v[10:11], v[138:139], s[18:19], -v[0:1]
	s_delay_alu instid0(VALU_DEP_3) | instskip(SKIP_1) | instid1(VALU_DEP_2)
	v_fma_f64 v[86:87], v[140:141], s[14:15], v[14:15]
	v_fma_f64 v[14:15], v[140:141], s[14:15], -v[14:15]
	v_add_f64_e32 v[86:87], v[86:87], v[154:155]
	v_mul_f64_e32 v[154:155], s[14:15], v[136:137]
	s_delay_alu instid0(VALU_DEP_1) | instskip(SKIP_1) | instid1(VALU_DEP_2)
	v_fma_f64 v[112:113], v[128:129], s[20:21], v[154:155]
	v_fma_f64 v[154:155], v[128:129], s[52:53], v[154:155]
	v_add_f64_e32 v[112:113], v[112:113], v[166:167]
	v_mul_f64_e32 v[166:167], s[40:41], v[174:175]
	s_delay_alu instid0(VALU_DEP_2) | instskip(NEXT) | instid1(VALU_DEP_2)
	v_add_f64_e32 v[90:91], v[90:91], v[112:113]
	v_fma_f64 v[114:115], v[126:127], s[2:3], v[166:167]
	v_fma_f64 v[112:113], v[138:139], s[18:19], v[0:1]
	scratch_load_b64 v[0:1], off, off offset:1380 th:TH_LOAD_LU ; 8-byte Folded Reload
	v_fma_f64 v[166:167], v[126:127], s[2:3], -v[166:167]
	v_add_f64_e32 v[86:87], v[114:115], v[86:87]
	s_delay_alu instid0(VALU_DEP_1) | instskip(SKIP_1) | instid1(VALU_DEP_1)
	v_add_f64_e32 v[86:87], v[112:113], v[86:87]
	v_fma_f64 v[112:113], v[106:107], s[46:47], v[228:229]
	v_add_f64_e32 v[90:91], v[112:113], v[90:91]
	v_fma_f64 v[112:113], v[96:97], s[12:13], v[22:23]
	v_fma_f64 v[22:23], v[96:97], s[12:13], -v[22:23]
	s_delay_alu instid0(VALU_DEP_2) | instskip(SKIP_2) | instid1(VALU_DEP_2)
	v_add_f64_e32 v[86:87], v[112:113], v[86:87]
	v_fma_f64 v[112:113], v[62:63], s[54:55], v[26:27]
	v_fma_f64 v[26:27], v[62:63], s[22:23], v[26:27]
	v_add_f64_e32 v[90:91], v[112:113], v[90:91]
	v_fma_f64 v[112:113], v[54:55], s[26:27], v[30:31]
	v_fma_f64 v[30:31], v[54:55], s[26:27], -v[30:31]
	s_delay_alu instid0(VALU_DEP_2) | instskip(SKIP_2) | instid1(VALU_DEP_2)
	v_add_f64_e32 v[86:87], v[112:113], v[86:87]
	v_fma_f64 v[112:113], v[52:53], s[28:29], v[32:33]
	v_fma_f64 v[32:33], v[52:53], s[48:49], v[32:33]
	v_add_f64_e32 v[90:91], v[112:113], v[90:91]
	v_fma_f64 v[112:113], v[46:47], s[0:1], v[34:35]
	v_fma_f64 v[34:35], v[46:47], s[0:1], -v[34:35]
	s_delay_alu instid0(VALU_DEP_2) | instskip(SKIP_4) | instid1(VALU_DEP_3)
	v_add_f64_e32 v[86:87], v[112:113], v[86:87]
	v_fma_f64 v[112:113], v[44:45], s[42:43], v[36:37]
	v_fma_f64 v[36:37], v[44:45], s[8:9], v[36:37]
	s_wait_loadcnt 0x0
	v_add_f64_e32 v[190:191], v[190:191], v[0:1]
	v_add_f64_e32 v[90:91], v[112:113], v[90:91]
	v_fma_f64 v[112:113], v[70:71], s[16:17], v[38:39]
	v_fma_f64 v[38:39], v[70:71], s[16:17], -v[38:39]
	s_delay_alu instid0(VALU_DEP_2) | instskip(SKIP_1) | instid1(VALU_DEP_1)
	v_add_f64_e32 v[112:113], v[112:113], v[86:87]
	v_mul_f64_e32 v[86:87], s[16:17], v[58:59]
	v_fma_f64 v[114:115], v[66:67], s[44:45], v[86:87]
	v_fma_f64 v[86:87], v[66:67], s[24:25], v[86:87]
	s_delay_alu instid0(VALU_DEP_2) | instskip(SKIP_2) | instid1(VALU_DEP_2)
	v_add_f64_e32 v[114:115], v[114:115], v[90:91]
	v_mul_f64_e32 v[90:91], s[50:51], v[142:143]
	v_mul_f64_e32 v[142:143], s[42:43], v[142:143]
	v_fma_f64 v[184:185], v[140:141], s[30:31], v[90:91]
	v_fma_f64 v[90:91], v[140:141], s[30:31], -v[90:91]
	s_delay_alu instid0(VALU_DEP_3) | instskip(SKIP_3) | instid1(VALU_DEP_2)
	v_fma_f64 v[188:189], v[140:141], s[0:1], v[142:143]
	v_fma_f64 v[140:141], v[140:141], s[0:1], -v[142:143]
	v_mul_f64_e32 v[142:143], s[30:31], v[136:137]
	v_mul_f64_e32 v[136:137], s[0:1], v[136:137]
	v_fma_f64 v[214:215], v[128:129], s[38:39], v[142:143]
	v_fma_f64 v[142:143], v[128:129], s[50:51], v[142:143]
	s_delay_alu instid0(VALU_DEP_3) | instskip(SKIP_3) | instid1(VALU_DEP_2)
	v_fma_f64 v[208:209], v[128:129], s[8:9], v[136:137]
	v_fma_f64 v[128:129], v[128:129], s[42:43], v[136:137]
	v_mul_f64_e32 v[136:137], s[8:9], v[174:175]
	v_mul_f64_e32 v[174:175], s[20:21], v[174:175]
	v_fma_f64 v[230:231], v[126:127], s[0:1], v[136:137]
	v_fma_f64 v[136:137], v[126:127], s[0:1], -v[136:137]
	s_delay_alu instid0(VALU_DEP_3) | instskip(SKIP_3) | instid1(VALU_DEP_2)
	v_fma_f64 v[176:177], v[126:127], s[14:15], v[174:175]
	v_fma_f64 v[126:127], v[126:127], s[14:15], -v[174:175]
	v_mul_f64_e32 v[174:175], s[0:1], v[124:125]
	v_mul_f64_e32 v[124:125], s[14:15], v[124:125]
	v_fma_f64 v[82:83], v[104:105], s[42:43], v[174:175]
	v_fma_f64 v[174:175], v[104:105], s[8:9], v[174:175]
	s_delay_alu instid0(VALU_DEP_3)
	v_fma_f64 v[252:253], v[104:105], s[52:53], v[124:125]
	v_fma_f64 v[104:105], v[104:105], s[20:21], v[124:125]
	v_add_f64_e32 v[124:125], v[184:185], v[162:163]
	v_mul_f64_e32 v[162:163], s[20:21], v[100:101]
	v_mul_f64_e32 v[184:185], s[44:45], v[100:101]
	;; [unrolled: 1-line block ×3, first 2 shown]
	s_delay_alu instid0(VALU_DEP_4) | instskip(NEXT) | instid1(VALU_DEP_4)
	v_add_f64_e32 v[124:125], v[230:231], v[124:125]
	v_fma_f64 v[254:255], v[138:139], s[14:15], v[162:163]
	v_fma_f64 v[162:163], v[138:139], s[14:15], -v[162:163]
	v_fma_f64 v[2:3], v[138:139], s[16:17], v[184:185]
	v_fma_f64 v[184:185], v[138:139], s[16:17], -v[184:185]
	;; [unrolled: 2-line block ×3, first 2 shown]
	v_add_f64_e32 v[138:139], v[214:215], v[4:5]
	v_mul_f64_e32 v[214:215], s[14:15], v[130:131]
	v_mul_f64_e32 v[230:231], s[16:17], v[130:131]
	;; [unrolled: 1-line block ×3, first 2 shown]
	v_fma_f64 v[4:5], v[106:107], s[36:37], v[228:229]
	v_add_f64_e32 v[124:125], v[254:255], v[124:125]
	v_add_f64_e32 v[82:83], v[82:83], v[138:139]
	v_fma_f64 v[228:229], v[106:107], s[52:53], v[214:215]
	v_fma_f64 v[214:215], v[106:107], s[20:21], v[214:215]
	;; [unrolled: 1-line block ×6, first 2 shown]
	scratch_load_b64 v[130:131], off, off offset:1260 th:TH_LOAD_LU ; 8-byte Folded Reload
	v_add_f64_e32 v[138:139], v[232:233], v[186:187]
	v_add_f64_e32 v[186:187], v[250:251], v[190:191]
	v_mul_f64_e32 v[190:191], s[48:49], v[98:99]
	v_mul_f64_e32 v[232:233], s[8:9], v[98:99]
	;; [unrolled: 1-line block ×3, first 2 shown]
	v_add_f64_e32 v[82:83], v[228:229], v[82:83]
	v_add_f64_e32 v[2:3], v[2:3], v[138:139]
	v_mul_f64_e32 v[138:139], s[26:27], v[68:69]
	v_add_f64_e32 v[0:1], v[0:1], v[186:187]
	v_fma_f64 v[250:251], v[96:97], s[0:1], v[232:233]
	v_fma_f64 v[232:233], v[96:97], s[0:1], -v[232:233]
	v_fma_f64 v[254:255], v[96:97], s[16:17], v[98:99]
	s_delay_alu instid0(VALU_DEP_3)
	v_add_f64_e32 v[2:3], v[250:251], v[2:3]
	s_wait_loadcnt 0x0
	v_add_f64_e32 v[130:131], v[196:197], v[130:131]
	scratch_load_b64 v[196:197], off, off offset:1268 th:TH_LOAD_LU ; 8-byte Folded Reload
	v_add_f64_e32 v[130:131], v[146:147], v[130:131]
	s_wait_loadcnt 0x0
	v_add_f64_e32 v[134:135], v[134:135], v[196:197]
	scratch_load_b64 v[196:197], off, off offset:1276 th:TH_LOAD_LU ; 8-byte Folded Reload
	;; [unrolled: 4-line block ×5, first 2 shown]
	v_add_f64_e32 v[160:161], v[160:161], v[212:213]
	s_delay_alu instid0(VALU_DEP_1) | instskip(SKIP_4) | instid1(VALU_DEP_1)
	v_add_f64_e32 v[160:161], v[240:241], v[160:161]
	s_wait_loadcnt 0x0
	v_add_f64_e32 v[150:151], v[150:151], v[236:237]
	scratch_load_b64 v[236:237], off, off offset:1308 th:TH_LOAD_LU ; 8-byte Folded Reload
	v_add_f64_e32 v[150:151], v[238:239], v[150:151]
	v_add_f64_e32 v[150:151], v[242:243], v[150:151]
	s_wait_loadcnt 0x0
	v_add_f64_e32 v[6:7], v[6:7], v[236:237]
	scratch_load_b64 v[236:237], off, off offset:1316 th:TH_LOAD_LU ; 8-byte Folded Reload
	v_add_f64_e32 v[6:7], v[164:165], v[6:7]
	s_delay_alu instid0(VALU_DEP_1) | instskip(NEXT) | instid1(VALU_DEP_1)
	v_add_f64_e32 v[6:7], v[16:17], v[6:7]
	v_add_f64_e32 v[6:7], v[24:25], v[6:7]
	s_delay_alu instid0(VALU_DEP_1) | instskip(SKIP_4) | instid1(VALU_DEP_1)
	v_add_f64_e32 v[6:7], v[72:73], v[6:7]
	s_wait_loadcnt 0x0
	v_add_f64_e32 v[152:153], v[152:153], v[236:237]
	scratch_load_b64 v[236:237], off, off offset:1324 th:TH_LOAD_LU ; 8-byte Folded Reload
	v_add_f64_e32 v[12:13], v[12:13], v[152:153]
	v_add_f64_e32 v[12:13], v[18:19], v[12:13]
	s_delay_alu instid0(VALU_DEP_1) | instskip(SKIP_1) | instid1(VALU_DEP_2)
	v_add_f64_e32 v[12:13], v[28:29], v[12:13]
	v_mul_f64_e32 v[28:29], s[46:47], v[56:57]
	v_add_f64_e32 v[12:13], v[74:75], v[12:13]
	v_fma_f64 v[74:75], v[44:45], s[44:45], v[110:111]
	v_fma_f64 v[110:111], v[66:67], s[40:41], v[94:95]
	s_delay_alu instid0(VALU_DEP_2)
	v_add_f64_e32 v[12:13], v[74:75], v[12:13]
	v_fma_f64 v[74:75], v[70:71], s[14:15], -v[156:157]
	s_wait_loadcnt 0x0
	v_add_f64_e32 v[14:15], v[14:15], v[236:237]
	scratch_load_b64 v[236:237], off, off offset:1332 th:TH_LOAD_LU ; 8-byte Folded Reload
	v_add_f64_e32 v[14:15], v[166:167], v[14:15]
	s_delay_alu instid0(VALU_DEP_1) | instskip(NEXT) | instid1(VALU_DEP_1)
	v_add_f64_e32 v[10:11], v[10:11], v[14:15]
	v_add_f64_e32 v[10:11], v[22:23], v[10:11]
	s_delay_alu instid0(VALU_DEP_1) | instskip(SKIP_1) | instid1(VALU_DEP_2)
	v_add_f64_e32 v[10:11], v[30:31], v[10:11]
	v_fma_f64 v[30:31], v[44:45], s[20:21], v[182:183]
	v_add_f64_e32 v[10:11], v[34:35], v[10:11]
	v_mul_f64_e32 v[34:35], s[46:47], v[64:65]
	s_wait_loadcnt 0x0
	v_add_f64_e32 v[154:155], v[154:155], v[236:237]
	scratch_load_b64 v[236:237], off, off offset:1340 th:TH_LOAD_LU ; 8-byte Folded Reload
	v_add_f64_e32 v[88:89], v[88:89], v[154:155]
	v_fma_f64 v[154:155], v[62:63], s[28:29], v[138:139]
	v_fma_f64 v[138:139], v[62:63], s[48:49], v[138:139]
	s_delay_alu instid0(VALU_DEP_3) | instskip(NEXT) | instid1(VALU_DEP_3)
	v_add_f64_e32 v[4:5], v[4:5], v[88:89]
	v_add_f64_e32 v[82:83], v[154:155], v[82:83]
	v_mul_f64_e32 v[154:155], s[0:1], v[68:69]
	v_mul_f64_e32 v[68:69], s[16:17], v[68:69]
	s_delay_alu instid0(VALU_DEP_4) | instskip(NEXT) | instid1(VALU_DEP_3)
	v_add_f64_e32 v[4:5], v[26:27], v[4:5]
	v_fma_f64 v[164:165], v[62:63], s[42:43], v[154:155]
	v_fma_f64 v[154:155], v[62:63], s[8:9], v[154:155]
	s_delay_alu instid0(VALU_DEP_4) | instskip(NEXT) | instid1(VALU_DEP_4)
	v_fma_f64 v[196:197], v[62:63], s[44:45], v[68:69]
	v_add_f64_e32 v[4:5], v[32:33], v[4:5]
	v_fma_f64 v[32:33], v[46:47], s[18:19], -v[132:133]
	v_add_f64_e32 v[0:1], v[164:165], v[0:1]
	v_mul_f64_e32 v[164:165], s[34:35], v[56:57]
	s_delay_alu instid0(VALU_DEP_4) | instskip(SKIP_1) | instid1(VALU_DEP_3)
	v_add_f64_e32 v[4:5], v[36:37], v[4:5]
	v_mul_f64_e32 v[36:37], s[18:19], v[58:59]
	v_fma_f64 v[166:167], v[54:55], s[2:3], v[164:165]
	s_wait_loadcnt 0x0
	v_add_f64_e32 v[90:91], v[90:91], v[236:237]
	scratch_load_b64 v[236:237], off, off offset:1348 th:TH_LOAD_LU ; 8-byte Folded Reload
	v_add_f64_e32 v[90:91], v[136:137], v[90:91]
	s_delay_alu instid0(VALU_DEP_1) | instskip(SKIP_4) | instid1(VALU_DEP_1)
	v_add_f64_e32 v[14:15], v[162:163], v[90:91]
	s_wait_loadcnt 0x0
	v_add_f64_e32 v[142:143], v[142:143], v[236:237]
	scratch_load_b64 v[236:237], off, off offset:1356 th:TH_LOAD_LU ; 8-byte Folded Reload
	v_add_f64_e32 v[136:137], v[174:175], v[142:143]
	v_add_f64_e32 v[16:17], v[214:215], v[136:137]
	s_delay_alu instid0(VALU_DEP_1) | instskip(SKIP_4) | instid1(VALU_DEP_1)
	v_add_f64_e32 v[16:17], v[138:139], v[16:17]
	s_wait_loadcnt 0x0
	v_add_f64_e32 v[236:237], v[248:249], v[236:237]
	scratch_load_b64 v[248:249], off, off offset:1364 th:TH_LOAD_LU ; 8-byte Folded Reload
	v_add_f64_e32 v[142:143], v[210:211], v[236:237]
	;; [unrolled: 7-line block ×3, first 2 shown]
	v_add_f64_e32 v[88:89], v[230:231], v[108:109]
	s_delay_alu instid0(VALU_DEP_1)
	v_add_f64_e32 v[22:23], v[154:155], v[88:89]
	v_fma_f64 v[88:89], v[54:55], s[2:3], -v[164:165]
	s_wait_loadcnt 0x0
	v_add_f64_e32 v[188:189], v[188:189], v[248:249]
	v_fma_f64 v[248:249], v[96:97], s[26:27], v[190:191]
	v_fma_f64 v[190:191], v[96:97], s[26:27], -v[190:191]
	v_fma_f64 v[96:97], v[96:97], s[16:17], -v[98:99]
	scratch_load_b64 v[98:99], off, off offset:1236 th:TH_LOAD_LU ; 8-byte Folded Reload
	v_add_f64_e32 v[152:153], v[176:177], v[188:189]
	v_add_f64_e32 v[124:125], v[248:249], v[124:125]
	;; [unrolled: 1-line block ×3, first 2 shown]
	s_delay_alu instid0(VALU_DEP_3) | instskip(NEXT) | instid1(VALU_DEP_3)
	v_add_f64_e32 v[20:21], v[20:21], v[152:153]
	v_add_f64_e32 v[124:125], v[166:167], v[124:125]
	v_mul_f64_e32 v[166:167], s[2:3], v[60:61]
	s_delay_alu instid0(VALU_DEP_4) | instskip(NEXT) | instid1(VALU_DEP_4)
	v_add_f64_e32 v[14:15], v[88:89], v[14:15]
	v_add_f64_e32 v[20:21], v[254:255], v[20:21]
	s_delay_alu instid0(VALU_DEP_3) | instskip(NEXT) | instid1(VALU_DEP_1)
	v_fma_f64 v[174:175], v[52:53], s[40:41], v[166:167]
	v_add_f64_e32 v[82:83], v[174:175], v[82:83]
	v_mul_f64_e32 v[174:175], s[22:23], v[56:57]
	v_fma_f64 v[56:57], v[54:55], s[16:17], -v[192:193]
	s_delay_alu instid0(VALU_DEP_2) | instskip(NEXT) | instid1(VALU_DEP_1)
	v_fma_f64 v[176:177], v[54:55], s[12:13], v[174:175]
	v_add_f64_e32 v[2:3], v[176:177], v[2:3]
	v_mul_f64_e32 v[176:177], s[12:13], v[60:61]
	s_delay_alu instid0(VALU_DEP_1) | instskip(NEXT) | instid1(VALU_DEP_1)
	v_fma_f64 v[180:181], v[52:53], s[54:55], v[176:177]
	v_add_f64_e32 v[0:1], v[180:181], v[0:1]
	v_mul_f64_e32 v[180:181], s[22:23], v[50:51]
	s_wait_loadcnt 0x0
	v_add_f64_e32 v[98:99], v[208:209], v[98:99]
	scratch_load_b64 v[208:209], off, off offset:1244 th:TH_LOAD_LU ; 8-byte Folded Reload
	v_fma_f64 v[186:187], v[46:47], s[12:13], v[180:181]
	v_add_f64_e32 v[98:99], v[252:253], v[98:99]
	s_delay_alu instid0(VALU_DEP_2) | instskip(SKIP_1) | instid1(VALU_DEP_3)
	v_add_f64_e32 v[124:125], v[186:187], v[124:125]
	v_mul_f64_e32 v[186:187], s[12:13], v[48:49]
	v_add_f64_e32 v[8:9], v[8:9], v[98:99]
	s_delay_alu instid0(VALU_DEP_2) | instskip(NEXT) | instid1(VALU_DEP_2)
	v_fma_f64 v[188:189], v[44:45], s[54:55], v[186:187]
	v_add_f64_e32 v[8:9], v[196:197], v[8:9]
	s_delay_alu instid0(VALU_DEP_2)
	v_add_f64_e32 v[82:83], v[188:189], v[82:83]
	v_fma_f64 v[188:189], v[62:63], s[40:41], v[246:247]
	s_wait_loadcnt 0x0
	v_add_f64_e32 v[140:141], v[140:141], v[208:209]
	scratch_load_b64 v[208:209], off, off offset:1252 th:TH_LOAD_LU ; 8-byte Folded Reload
	v_add_f64_e32 v[126:127], v[126:127], v[140:141]
	v_fma_f64 v[140:141], v[62:63], s[52:53], v[226:227]
	s_delay_alu instid0(VALU_DEP_2) | instskip(SKIP_3) | instid1(VALU_DEP_4)
	v_add_f64_e32 v[90:91], v[100:101], v[126:127]
	v_mul_f64_e32 v[100:101], s[40:41], v[50:51]
	v_mul_f64_e32 v[50:51], s[38:39], v[50:51]
	v_add_f64_e32 v[126:127], v[244:245], v[160:161]
	v_add_f64_e32 v[24:25], v[96:97], v[90:91]
	v_fma_f64 v[90:91], v[54:55], s[12:13], -v[174:175]
	v_fma_f64 v[96:97], v[54:55], s[18:19], v[28:29]
	v_fma_f64 v[28:29], v[54:55], s[18:19], -v[28:29]
	v_add_f64_e32 v[76:77], v[76:77], v[126:127]
	v_fma_f64 v[126:127], v[66:67], s[20:21], v[158:159]
	v_add_f64_e32 v[18:19], v[90:91], v[18:19]
	v_add_f64_e32 v[20:21], v[96:97], v[20:21]
	;; [unrolled: 1-line block ×3, first 2 shown]
	v_fma_f64 v[28:29], v[46:47], s[14:15], -v[234:235]
	s_wait_loadcnt 0x0
	v_add_f64_e32 v[128:129], v[128:129], v[208:209]
	s_delay_alu instid0(VALU_DEP_1)
	v_add_f64_e32 v[104:105], v[104:105], v[128:129]
	v_fma_f64 v[128:129], v[62:63], s[38:39], v[206:207]
	v_fma_f64 v[62:63], v[62:63], s[24:25], v[68:69]
	v_add_f64_e32 v[68:69], v[200:201], v[130:131]
	v_add_f64_e32 v[130:131], v[202:203], v[134:135]
	;; [unrolled: 1-line block ×4, first 2 shown]
	scratch_load_b32 v221, off, off offset:168 ; 4-byte Folded Reload
	v_add_f64_e32 v[98:99], v[106:107], v[104:105]
	v_fma_f64 v[104:105], v[46:47], s[2:3], v[100:101]
	v_add_f64_e32 v[68:69], v[204:205], v[68:69]
	v_add_f64_e32 v[106:107], v[224:225], v[134:135]
	;; [unrolled: 1-line block ×3, first 2 shown]
	v_fma_f64 v[134:135], v[52:53], s[22:23], v[176:177]
	v_add_f64_e32 v[26:27], v[62:63], v[98:99]
	v_fma_f64 v[62:63], v[54:55], s[30:31], -v[178:179]
	v_mul_f64_e32 v[54:55], s[18:19], v[60:61]
	v_add_f64_e32 v[2:3], v[104:105], v[2:3]
	v_add_f64_e32 v[104:105], v[128:129], v[130:131]
	v_fma_f64 v[60:61], v[52:53], s[24:25], v[172:173]
	v_fma_f64 v[98:99], v[52:53], s[50:51], v[148:149]
	;; [unrolled: 1-line block ×3, first 2 shown]
	v_add_f64_e32 v[56:57], v[56:57], v[68:69]
	v_add_f64_e32 v[128:129], v[188:189], v[150:151]
	;; [unrolled: 1-line block ×4, first 2 shown]
	v_fma_f64 v[136:137], v[52:53], s[36:37], v[54:55]
	v_fma_f64 v[52:53], v[52:53], s[46:47], v[54:55]
	v_mul_f64_e32 v[54:55], s[2:3], v[48:49]
	v_add_f64_e32 v[60:61], v[60:61], v[104:105]
	v_add_f64_e32 v[68:69], v[98:99], v[108:109]
	v_mul_f64_e32 v[48:49], s[30:31], v[48:49]
	v_add_f64_e32 v[28:29], v[28:29], v[56:57]
	v_fma_f64 v[56:57], v[46:47], s[16:17], -v[80:81]
	v_fma_f64 v[80:81], v[44:45], s[22:23], v[186:187]
	v_add_f64_e32 v[78:79], v[78:79], v[128:129]
	v_add_f64_e32 v[16:17], v[130:131], v[16:17]
	;; [unrolled: 1-line block ×3, first 2 shown]
	v_fma_f64 v[62:63], v[46:47], s[2:3], -v[100:101]
	v_add_f64_e32 v[26:27], v[52:53], v[26:27]
	v_fma_f64 v[52:53], v[44:45], s[46:47], v[144:145]
	v_fma_f64 v[138:139], v[44:45], s[34:35], v[54:55]
	v_add_f64_e32 v[30:31], v[30:31], v[60:61]
	v_fma_f64 v[60:61], v[46:47], s[12:13], -v[180:181]
	v_fma_f64 v[54:55], v[44:45], s[40:41], v[54:55]
	v_fma_f64 v[88:89], v[44:45], s[50:51], v[48:49]
	v_add_f64_e32 v[8:9], v[136:137], v[8:9]
	v_add_f64_e32 v[6:7], v[56:57], v[6:7]
	v_mul_f64_e32 v[56:57], s[26:27], v[58:59]
	v_add_f64_e32 v[16:17], v[80:81], v[16:17]
	v_add_f64_e32 v[18:19], v[62:63], v[18:19]
	;; [unrolled: 1-line block ×3, first 2 shown]
	v_fma_f64 v[52:53], v[46:47], s[26:27], -v[92:93]
	v_fma_f64 v[68:69], v[46:47], s[30:31], v[50:51]
	v_fma_f64 v[46:47], v[46:47], s[30:31], -v[50:51]
	v_fma_f64 v[50:51], v[44:45], s[28:29], v[102:103]
	v_fma_f64 v[44:45], v[44:45], s[38:39], v[48:49]
	v_mul_f64_e32 v[48:49], s[38:39], v[64:65]
	v_add_f64_e32 v[0:1], v[138:139], v[0:1]
	v_add_f64_e32 v[14:15], v[60:61], v[14:15]
	;; [unrolled: 1-line block ×3, first 2 shown]
	v_fma_f64 v[88:89], v[66:67], s[28:29], v[56:57]
	v_fma_f64 v[98:99], v[66:67], s[48:49], v[56:57]
	v_add_f64_e32 v[22:23], v[54:55], v[22:23]
	v_fma_f64 v[54:55], v[70:71], s[18:19], v[34:35]
	v_fma_f64 v[34:35], v[70:71], s[18:19], -v[34:35]
	v_add_f64_e32 v[76:77], v[52:53], v[76:77]
	v_mul_f64_e32 v[52:53], s[48:49], v[64:65]
	v_add_f64_e32 v[20:21], v[68:69], v[20:21]
	v_add_f64_e32 v[90:91], v[50:51], v[78:79]
	;; [unrolled: 1-line block ×3, first 2 shown]
	scratch_load_b64 v[44:45], off, off offset:1212 th:TH_LOAD_LU ; 8-byte Folded Reload
	v_mul_f64_e32 v[50:51], s[30:31], v[58:59]
	v_fma_f64 v[60:61], v[70:71], s[30:31], v[48:49]
	v_fma_f64 v[78:79], v[70:71], s[2:3], -v[84:85]
	v_fma_f64 v[58:59], v[66:67], s[36:37], v[36:37]
	v_fma_f64 v[80:81], v[70:71], s[30:31], -v[48:49]
	v_fma_f64 v[36:37], v[66:67], s[46:47], v[36:37]
	v_add_f64_e32 v[24:25], v[46:47], v[24:25]
	v_add_f64_e32 v[102:103], v[88:89], v[8:9]
	;; [unrolled: 1-line block ×3, first 2 shown]
	v_fma_f64 v[84:85], v[70:71], s[26:27], v[52:53]
	v_add_f64_e32 v[106:107], v[98:99], v[26:27]
	v_fma_f64 v[62:63], v[66:67], s[50:51], v[50:51]
	v_fma_f64 v[108:109], v[66:67], s[38:39], v[50:51]
	v_add_f64_e32 v[48:49], v[60:61], v[2:3]
	v_add_f64_e32 v[46:47], v[58:59], v[82:83]
	;; [unrolled: 1-line block ×10, first 2 shown]
	s_wait_loadcnt 0x0
	v_fma_f64 v[64:65], v[70:71], s[12:13], -v[44:45]
	scratch_load_b64 v[44:45], off, off offset:1228 th:TH_LOAD_LU ; 8-byte Folded Reload
	s_wait_loadcnt 0x0
	v_fma_f64 v[68:69], v[70:71], s[0:1], -v[44:45]
	scratch_load_b64 v[44:45], off, off offset:1220 th:TH_LOAD_LU ; 8-byte Folded Reload
	v_fma_f64 v[70:71], v[70:71], s[26:27], -v[52:53]
	v_add_f64_e32 v[52:53], v[64:65], v[28:29]
	v_add_nc_u32_e32 v65, 0x330, v221
	v_add_nc_u32_e32 v64, 0x440, v221
	v_add_f64_e32 v[56:57], v[68:69], v[32:33]
	v_add_f64_e32 v[104:105], v[70:71], v[24:25]
	;; [unrolled: 1-line block ×3, first 2 shown]
	s_wait_loadcnt 0x0
	v_fma_f64 v[128:129], v[66:67], s[42:43], v[44:45]
	scratch_load_b64 v[44:45], off, off offset:1204 th:TH_LOAD_LU ; 8-byte Folded Reload
	global_wb scope:SCOPE_SE
	s_wait_loadcnt 0x0
	s_wait_storecnt 0x0
	s_barrier_signal -1
	s_barrier_wait -1
	global_inv scope:SCOPE_SE
	v_add_f64_e32 v[58:59], v[128:129], v[72:73]
	v_fma_f64 v[130:131], v[66:67], s[22:23], v[44:45]
	v_add_f64_e32 v[67:68], v[78:79], v[6:7]
	v_add_f64_e32 v[78:79], v[86:87], v[4:5]
	s_clause 0x1
	scratch_load_b32 v0, off, off offset:1056 th:TH_LOAD_LU
	scratch_load_b128 v[1:4], off, off offset:1188 th:TH_LOAD_LU
	v_add_f64_e32 v[44:45], v[54:55], v[124:125]
	v_add_nc_u32_e32 v66, 0x220, v221
	v_add_f64_e32 v[54:55], v[130:131], v[30:31]
	s_wait_loadcnt 0x0
	ds_store_b128 v0, v[1:4]
	ds_store_b128 v0, v[168:171] offset:16
	ds_store_b128 v0, v[120:123] offset:32
	;; [unrolled: 1-line block ×16, first 2 shown]
	s_and_saveexec_b32 s33, vcc_lo
	s_cbranch_execz .LBB0_13
; %bb.12:
	s_clause 0x10
	scratch_load_b128 v[145:148], off, off offset:1060 th:TH_LOAD_LU
	scratch_load_b128 v[58:61], off, off offset:1092 th:TH_LOAD_LU
	;; [unrolled: 1-line block ×17, first 2 shown]
	s_wait_loadcnt 0xf
	v_add_f64_e32 v[0:1], v[147:148], v[60:61]
	v_add_f64_e32 v[2:3], v[145:146], v[58:59]
	s_wait_loadcnt 0x7
	v_add_f64_e64 v[28:29], v[12:13], -v[16:17]
	s_wait_loadcnt 0x6
	v_add_f64_e64 v[32:33], v[36:37], -v[20:21]
	v_add_f64_e64 v[30:31], v[14:15], -v[18:19]
	v_add_f64_e32 v[26:27], v[14:15], v[18:19]
	v_add_f64_e32 v[24:25], v[12:13], v[16:17]
	v_add_f64_e64 v[40:41], v[38:39], -v[22:23]
	s_wait_loadcnt 0x1
	v_add_f64_e64 v[4:5], v[58:59], -v[109:110]
	v_add_f64_e64 v[6:7], v[60:61], -v[111:112]
	v_add_f64_e32 v[8:9], v[60:61], v[111:112]
	v_add_f64_e64 v[34:35], v[105:106], -v[50:51]
	v_add_f64_e64 v[42:43], v[75:76], -v[71:72]
	v_add_f64_e64 v[56:57], v[101:102], -v[81:82]
	v_add_f64_e64 v[46:47], v[107:108], -v[52:53]
	v_add_f64_e32 v[48:49], v[107:108], v[52:53]
	v_add_f64_e32 v[44:45], v[105:106], v[50:51]
	v_add_f64_e64 v[60:61], v[103:104], -v[83:84]
	v_add_f64_e32 v[54:55], v[77:78], v[73:74]
	v_add_f64_e32 v[79:80], v[99:100], v[91:92]
	s_wait_loadcnt 0x0
	v_add_f64_e64 v[69:70], v[93:94], -v[85:86]
	v_add_f64_e64 v[67:68], v[97:98], -v[89:90]
	v_add_f64_e32 v[0:1], v[0:1], v[95:96]
	v_add_f64_e32 v[2:3], v[2:3], v[93:94]
	v_mul_f64_e32 v[153:154], s[48:49], v[28:29]
	v_mul_f64_e32 v[155:156], s[48:49], v[30:31]
	v_mul_f64_e32 v[10:11], s[22:23], v[4:5]
	v_mul_f64_e32 v[62:63], s[34:35], v[4:5]
	v_mul_f64_e32 v[157:158], s[22:23], v[69:70]
	v_mul_f64_e32 v[159:160], s[24:25], v[69:70]
	v_mul_f64_e32 v[161:162], s[28:29], v[69:70]
	v_mul_f64_e32 v[189:190], s[50:51], v[67:68]
	v_mul_f64_e32 v[191:192], s[54:55], v[67:68]
	v_mul_f64_e32 v[193:194], s[24:25], v[67:68]
	v_add_f64_e32 v[0:1], v[0:1], v[99:100]
	v_add_f64_e32 v[2:3], v[2:3], v[97:98]
	v_fma_f64 v[197:198], v[79:80], s[30:31], v[189:190]
	v_fma_f64 v[189:190], v[79:80], s[30:31], -v[189:190]
	v_fma_f64 v[199:200], v[79:80], s[12:13], -v[191:192]
	v_fma_f64 v[191:192], v[79:80], s[12:13], v[191:192]
	v_fma_f64 v[201:202], v[79:80], s[16:17], -v[193:194]
	v_fma_f64 v[193:194], v[79:80], s[16:17], v[193:194]
	v_add_f64_e32 v[0:1], v[0:1], v[103:104]
	v_add_f64_e32 v[2:3], v[2:3], v[101:102]
	s_delay_alu instid0(VALU_DEP_2) | instskip(NEXT) | instid1(VALU_DEP_2)
	v_add_f64_e32 v[0:1], v[0:1], v[77:78]
	v_add_f64_e32 v[2:3], v[2:3], v[75:76]
	s_delay_alu instid0(VALU_DEP_2) | instskip(NEXT) | instid1(VALU_DEP_2)
	;; [unrolled: 3-line block ×3, first 2 shown]
	v_add_f64_e32 v[0:1], v[0:1], v[38:39]
	v_add_f64_e32 v[2:3], v[2:3], v[36:37]
	;; [unrolled: 1-line block ×4, first 2 shown]
	s_delay_alu instid0(VALU_DEP_4) | instskip(NEXT) | instid1(VALU_DEP_4)
	v_add_f64_e32 v[0:1], v[0:1], v[14:15]
	v_add_f64_e32 v[2:3], v[2:3], v[12:13]
	v_mul_f64_e32 v[12:13], s[20:21], v[4:5]
	v_mul_f64_e32 v[14:15], s[24:25], v[4:5]
	s_delay_alu instid0(VALU_DEP_4) | instskip(NEXT) | instid1(VALU_DEP_4)
	v_add_f64_e32 v[0:1], v[0:1], v[18:19]
	v_add_f64_e32 v[2:3], v[2:3], v[16:17]
	v_mul_f64_e32 v[16:17], s[38:39], v[4:5]
	v_mul_f64_e32 v[18:19], s[28:29], v[4:5]
	;; [unrolled: 5-line block ×3, first 2 shown]
	v_fma_f64 v[105:106], v[8:9], s[30:31], v[16:17]
	v_fma_f64 v[16:17], v[8:9], s[30:31], -v[16:17]
	v_fma_f64 v[107:108], v[8:9], s[26:27], v[18:19]
	v_fma_f64 v[18:19], v[8:9], s[26:27], -v[18:19]
	v_add_f64_e32 v[0:1], v[0:1], v[52:53]
	v_add_f64_e32 v[2:3], v[2:3], v[50:51]
	v_add_f64_e64 v[52:53], v[77:78], -v[73:74]
	v_add_f64_e32 v[50:51], v[75:76], v[71:72]
	v_add_f64_e32 v[75:76], v[58:59], v[109:110]
	;; [unrolled: 1-line block ×4, first 2 shown]
	v_fma_f64 v[101:102], v[8:9], s[14:15], v[12:13]
	v_fma_f64 v[12:13], v[8:9], s[14:15], -v[12:13]
	v_fma_f64 v[103:104], v[8:9], s[16:17], v[14:15]
	v_fma_f64 v[14:15], v[8:9], s[16:17], -v[14:15]
	v_add_f64_e32 v[131:132], v[147:148], v[16:17]
	v_add_f64_e32 v[133:134], v[147:148], v[18:19]
	;; [unrolled: 1-line block ×6, first 2 shown]
	v_add_f64_e64 v[71:72], v[99:100], -v[91:92]
	v_fma_f64 v[99:100], v[8:9], s[12:13], v[10:11]
	v_fma_f64 v[10:11], v[8:9], s[12:13], -v[10:11]
	v_add_f64_e64 v[73:74], v[95:96], -v[87:88]
	v_add_f64_e32 v[101:102], v[147:148], v[101:102]
	v_add_f64_e32 v[103:104], v[147:148], v[103:104]
	;; [unrolled: 1-line block ×3, first 2 shown]
	v_mul_f64_e32 v[14:15], s[20:21], v[67:68]
	v_add_f64_e32 v[0:1], v[0:1], v[83:84]
	v_add_f64_e32 v[2:3], v[2:3], v[81:82]
	v_add_f64_e32 v[81:82], v[95:96], v[87:88]
	v_add_f64_e32 v[83:84], v[97:98], v[89:90]
	v_mul_f64_e32 v[95:96], s[28:29], v[6:7]
	v_mul_f64_e32 v[97:98], s[36:37], v[6:7]
	v_add_f64_e32 v[10:11], v[147:148], v[10:11]
	v_mul_f64_e32 v[173:174], s[22:23], v[73:74]
	v_mul_f64_e32 v[175:176], s[24:25], v[73:74]
	v_mul_f64_e32 v[177:178], s[28:29], v[73:74]
	v_mul_f64_e32 v[205:206], s[50:51], v[71:72]
	v_fma_f64 v[16:17], v[79:80], s[14:15], v[14:15]
	v_mul_f64_e32 v[207:208], s[54:55], v[71:72]
	v_mul_f64_e32 v[209:210], s[24:25], v[71:72]
	v_add_f64_e32 v[0:1], v[0:1], v[91:92]
	v_add_f64_e32 v[2:3], v[2:3], v[89:90]
	v_mul_f64_e32 v[89:90], s[20:21], v[6:7]
	v_mul_f64_e32 v[91:92], s[24:25], v[6:7]
	v_fma_f64 v[121:122], v[75:76], s[26:27], -v[95:96]
	v_fma_f64 v[95:96], v[75:76], s[26:27], v[95:96]
	v_fma_f64 v[123:124], v[75:76], s[18:19], v[97:98]
	v_fma_f64 v[97:98], v[75:76], s[18:19], -v[97:98]
	v_fma_f64 v[165:166], v[81:82], s[12:13], v[157:158]
	v_fma_f64 v[157:158], v[81:82], s[12:13], -v[157:158]
	v_fma_f64 v[167:168], v[81:82], s[16:17], -v[159:160]
	v_fma_f64 v[159:160], v[81:82], s[16:17], v[159:160]
	v_fma_f64 v[169:170], v[81:82], s[26:27], -v[161:162]
	v_fma_f64 v[161:162], v[81:82], s[26:27], v[161:162]
	;; [unrolled: 2-line block ×3, first 2 shown]
	v_fma_f64 v[215:216], v[83:84], s[12:13], v[207:208]
	v_fma_f64 v[207:208], v[83:84], s[12:13], -v[207:208]
	v_fma_f64 v[217:218], v[83:84], s[16:17], v[209:210]
	v_fma_f64 v[209:210], v[83:84], s[16:17], -v[209:210]
	v_add_f64_e32 v[0:1], v[0:1], v[87:88]
	v_add_f64_e32 v[20:21], v[2:3], v[85:86]
	;; [unrolled: 1-line block ×3, first 2 shown]
	v_mul_f64_e32 v[87:88], s[22:23], v[6:7]
	v_mul_f64_e32 v[93:94], s[38:39], v[6:7]
	v_fma_f64 v[115:116], v[75:76], s[14:15], -v[89:90]
	v_fma_f64 v[89:90], v[75:76], s[14:15], v[89:90]
	v_fma_f64 v[117:118], v[75:76], s[16:17], -v[91:92]
	v_fma_f64 v[91:92], v[75:76], s[16:17], v[91:92]
	v_add_f64_e32 v[121:122], v[145:146], v[121:122]
	v_add_f64_e32 v[95:96], v[145:146], v[95:96]
	;; [unrolled: 1-line block ×6, first 2 shown]
	v_fma_f64 v[20:21], v[8:9], s[18:19], -v[22:23]
	v_fma_f64 v[109:110], v[8:9], s[2:3], -v[62:63]
	v_fma_f64 v[111:112], v[8:9], s[0:1], -v[4:5]
	v_fma_f64 v[22:23], v[8:9], s[18:19], v[22:23]
	v_fma_f64 v[62:63], v[8:9], s[2:3], v[62:63]
	v_fma_f64 v[4:5], v[8:9], s[0:1], v[4:5]
	v_mul_f64_e32 v[8:9], s[34:35], v[6:7]
	v_mul_f64_e32 v[6:7], s[8:9], v[6:7]
	v_fma_f64 v[113:114], v[75:76], s[12:13], -v[87:88]
	v_fma_f64 v[87:88], v[75:76], s[12:13], v[87:88]
	v_fma_f64 v[119:120], v[75:76], s[30:31], -v[93:94]
	v_fma_f64 v[93:94], v[75:76], s[30:31], v[93:94]
	v_add_f64_e32 v[89:90], v[145:146], v[89:90]
	v_add_f64_e32 v[117:118], v[145:146], v[117:118]
	;; [unrolled: 1-line block ×3, first 2 shown]
	v_fma_f64 v[181:182], v[85:86], s[12:13], -v[173:174]
	v_fma_f64 v[173:174], v[85:86], s[12:13], v[173:174]
	v_fma_f64 v[183:184], v[85:86], s[16:17], v[175:176]
	v_fma_f64 v[175:176], v[85:86], s[16:17], -v[175:176]
	v_fma_f64 v[185:186], v[85:86], s[26:27], v[177:178]
	v_fma_f64 v[177:178], v[85:86], s[26:27], -v[177:178]
	v_add_f64_e32 v[135:136], v[147:148], v[20:21]
	v_add_f64_e32 v[109:110], v[147:148], v[109:110]
	;; [unrolled: 1-line block ×6, first 2 shown]
	v_fma_f64 v[125:126], v[75:76], s[2:3], v[8:9]
	v_fma_f64 v[8:9], v[75:76], s[2:3], -v[8:9]
	v_fma_f64 v[127:128], v[75:76], s[0:1], v[6:7]
	v_fma_f64 v[6:7], v[75:76], s[0:1], -v[6:7]
	v_add_f64_e32 v[75:76], v[147:148], v[99:100]
	v_add_f64_e32 v[99:100], v[145:146], v[113:114]
	;; [unrolled: 1-line block ×4, first 2 shown]
	v_mul_f64_e32 v[12:13], s[42:43], v[73:74]
	v_add_f64_e32 v[87:88], v[145:146], v[87:88]
	v_add_f64_e32 v[119:120], v[145:146], v[119:120]
	;; [unrolled: 1-line block ×9, first 2 shown]
	v_mul_f64_e32 v[8:9], s[42:43], v[69:70]
	v_add_f64_e32 v[127:128], v[145:146], v[127:128]
	v_add_f64_e32 v[145:146], v[145:146], v[6:7]
	v_fma_f64 v[6:7], v[85:86], s[0:1], -v[12:13]
	v_add_f64_e32 v[95:96], v[205:206], v[95:96]
	v_add_f64_e32 v[97:98], v[207:208], v[97:98]
	v_add_f64_e32 v[109:110], v[201:202], v[109:110]
	v_add_f64_e32 v[125:126], v[185:186], v[125:126]
	v_fma_f64 v[4:5], v[81:82], s[0:1], v[8:9]
	v_fma_f64 v[8:9], v[81:82], s[0:1], -v[8:9]
	v_add_f64_e32 v[6:7], v[6:7], v[99:100]
	s_delay_alu instid0(VALU_DEP_3) | instskip(NEXT) | instid1(VALU_DEP_3)
	v_add_f64_e32 v[4:5], v[4:5], v[75:76]
	v_add_f64_e32 v[8:9], v[8:9], v[10:11]
	v_fma_f64 v[10:11], v[85:86], s[0:1], v[12:13]
	v_fma_f64 v[12:13], v[79:80], s[14:15], -v[14:15]
	v_fma_f64 v[14:15], v[24:25], s[26:27], v[155:156]
	v_add_f64_e32 v[4:5], v[16:17], v[4:5]
	v_mul_f64_e32 v[16:17], s[20:21], v[71:72]
	v_add_f64_e32 v[10:11], v[10:11], v[87:88]
	v_add_f64_e32 v[8:9], v[12:13], v[8:9]
	s_delay_alu instid0(VALU_DEP_3) | instskip(SKIP_2) | instid1(VALU_DEP_3)
	v_fma_f64 v[18:19], v[83:84], s[14:15], -v[16:17]
	v_fma_f64 v[12:13], v[83:84], s[14:15], v[16:17]
	v_mul_f64_e32 v[16:17], s[46:47], v[69:70]
	v_add_f64_e32 v[6:7], v[18:19], v[6:7]
	v_mul_f64_e32 v[18:19], s[40:41], v[56:57]
	s_delay_alu instid0(VALU_DEP_4) | instskip(NEXT) | instid1(VALU_DEP_2)
	v_add_f64_e32 v[10:11], v[12:13], v[10:11]
	v_fma_f64 v[20:21], v[77:78], s[2:3], v[18:19]
	v_fma_f64 v[12:13], v[77:78], s[2:3], -v[18:19]
	v_mul_f64_e32 v[18:19], s[46:47], v[73:74]
	s_delay_alu instid0(VALU_DEP_3) | instskip(SKIP_1) | instid1(VALU_DEP_4)
	v_add_f64_e32 v[4:5], v[20:21], v[4:5]
	v_mul_f64_e32 v[20:21], s[40:41], v[60:61]
	v_add_f64_e32 v[8:9], v[12:13], v[8:9]
	s_delay_alu instid0(VALU_DEP_2) | instskip(SKIP_2) | instid1(VALU_DEP_3)
	v_fma_f64 v[22:23], v[58:59], s[2:3], -v[20:21]
	v_fma_f64 v[12:13], v[58:59], s[2:3], v[20:21]
	v_mul_f64_e32 v[20:21], s[28:29], v[67:68]
	v_add_f64_e32 v[6:7], v[22:23], v[6:7]
	v_mul_f64_e32 v[22:23], s[24:25], v[42:43]
	s_delay_alu instid0(VALU_DEP_4) | instskip(NEXT) | instid1(VALU_DEP_2)
	v_add_f64_e32 v[10:11], v[12:13], v[10:11]
	v_fma_f64 v[62:63], v[54:55], s[16:17], v[22:23]
	v_fma_f64 v[12:13], v[54:55], s[16:17], -v[22:23]
	v_fma_f64 v[22:23], v[79:80], s[26:27], v[20:21]
	v_fma_f64 v[20:21], v[79:80], s[26:27], -v[20:21]
	s_delay_alu instid0(VALU_DEP_4) | instskip(SKIP_2) | instid1(VALU_DEP_2)
	v_add_f64_e32 v[4:5], v[62:63], v[4:5]
	v_mul_f64_e32 v[62:63], s[24:25], v[52:53]
	v_add_f64_e32 v[8:9], v[12:13], v[8:9]
	v_fma_f64 v[75:76], v[50:51], s[16:17], -v[62:63]
	v_fma_f64 v[12:13], v[50:51], s[16:17], v[62:63]
	s_delay_alu instid0(VALU_DEP_2) | instskip(SKIP_1) | instid1(VALU_DEP_3)
	v_add_f64_e32 v[6:7], v[75:76], v[6:7]
	v_mul_f64_e32 v[75:76], s[46:47], v[34:35]
	v_add_f64_e32 v[10:11], v[12:13], v[10:11]
	s_delay_alu instid0(VALU_DEP_2) | instskip(SKIP_1) | instid1(VALU_DEP_2)
	v_fma_f64 v[99:100], v[48:49], s[18:19], v[75:76]
	v_fma_f64 v[12:13], v[48:49], s[18:19], -v[75:76]
	v_add_f64_e32 v[4:5], v[99:100], v[4:5]
	v_mul_f64_e32 v[99:100], s[46:47], v[46:47]
	s_delay_alu instid0(VALU_DEP_3) | instskip(NEXT) | instid1(VALU_DEP_2)
	v_add_f64_e32 v[8:9], v[12:13], v[8:9]
	v_fma_f64 v[147:148], v[44:45], s[18:19], -v[99:100]
	v_fma_f64 v[12:13], v[44:45], s[18:19], v[99:100]
	s_delay_alu instid0(VALU_DEP_2) | instskip(SKIP_1) | instid1(VALU_DEP_3)
	v_add_f64_e32 v[6:7], v[147:148], v[6:7]
	v_mul_f64_e32 v[147:148], s[38:39], v[32:33]
	v_add_f64_e32 v[10:11], v[12:13], v[10:11]
	s_delay_alu instid0(VALU_DEP_2) | instskip(SKIP_1) | instid1(VALU_DEP_2)
	v_fma_f64 v[149:150], v[38:39], s[30:31], v[147:148]
	v_fma_f64 v[12:13], v[38:39], s[30:31], -v[147:148]
	v_add_f64_e32 v[4:5], v[149:150], v[4:5]
	v_mul_f64_e32 v[149:150], s[38:39], v[40:41]
	s_delay_alu instid0(VALU_DEP_3) | instskip(NEXT) | instid1(VALU_DEP_2)
	v_add_f64_e32 v[8:9], v[12:13], v[8:9]
	v_fma_f64 v[12:13], v[36:37], s[30:31], v[149:150]
	v_fma_f64 v[151:152], v[36:37], s[30:31], -v[149:150]
	s_delay_alu instid0(VALU_DEP_2) | instskip(SKIP_1) | instid1(VALU_DEP_3)
	v_add_f64_e32 v[12:13], v[12:13], v[10:11]
	v_fma_f64 v[10:11], v[26:27], s[26:27], -v[153:154]
	v_add_f64_e32 v[151:152], v[151:152], v[6:7]
	v_fma_f64 v[6:7], v[26:27], s[26:27], v[153:154]
	v_mul_f64_e32 v[153:154], s[38:39], v[28:29]
	s_delay_alu instid0(VALU_DEP_4)
	v_add_f64_e32 v[10:11], v[10:11], v[8:9]
	v_add_f64_e32 v[8:9], v[14:15], v[12:13]
	v_fma_f64 v[12:13], v[81:82], s[18:19], v[16:17]
	v_fma_f64 v[14:15], v[85:86], s[18:19], -v[18:19]
	v_fma_f64 v[16:17], v[81:82], s[18:19], -v[16:17]
	v_fma_f64 v[18:19], v[85:86], s[18:19], v[18:19]
	v_add_f64_e32 v[6:7], v[6:7], v[4:5]
	v_fma_f64 v[4:5], v[24:25], s[26:27], -v[155:156]
	v_mul_f64_e32 v[155:156], s[38:39], v[30:31]
	v_add_f64_e32 v[12:13], v[12:13], v[101:102]
	v_add_f64_e32 v[14:15], v[14:15], v[113:114]
	;; [unrolled: 1-line block ×4, first 2 shown]
	v_mul_f64_e32 v[89:90], s[8:9], v[67:68]
	v_mul_f64_e32 v[115:116], s[48:49], v[52:53]
	v_add_f64_e32 v[4:5], v[4:5], v[151:152]
	v_add_f64_e32 v[12:13], v[22:23], v[12:13]
	v_mul_f64_e32 v[22:23], s[28:29], v[71:72]
	v_add_f64_e32 v[16:17], v[20:21], v[16:17]
	s_delay_alu instid0(VALU_DEP_2) | instskip(SKIP_2) | instid1(VALU_DEP_3)
	v_fma_f64 v[62:63], v[83:84], s[26:27], -v[22:23]
	v_fma_f64 v[20:21], v[83:84], s[26:27], v[22:23]
	v_fma_f64 v[22:23], v[24:25], s[30:31], v[155:156]
	v_add_f64_e32 v[14:15], v[62:63], v[14:15]
	v_mul_f64_e32 v[62:63], s[44:45], v[56:57]
	s_delay_alu instid0(VALU_DEP_4) | instskip(NEXT) | instid1(VALU_DEP_2)
	v_add_f64_e32 v[18:19], v[20:21], v[18:19]
	v_fma_f64 v[75:76], v[77:78], s[16:17], v[62:63]
	v_fma_f64 v[20:21], v[77:78], s[16:17], -v[62:63]
	v_fma_f64 v[62:63], v[79:80], s[0:1], v[89:90]
	v_fma_f64 v[89:90], v[79:80], s[0:1], -v[89:90]
	s_delay_alu instid0(VALU_DEP_4) | instskip(SKIP_2) | instid1(VALU_DEP_2)
	v_add_f64_e32 v[12:13], v[75:76], v[12:13]
	v_mul_f64_e32 v[75:76], s[44:45], v[60:61]
	v_add_f64_e32 v[16:17], v[20:21], v[16:17]
	v_fma_f64 v[87:88], v[58:59], s[16:17], -v[75:76]
	v_fma_f64 v[20:21], v[58:59], s[16:17], v[75:76]
	v_mul_f64_e32 v[75:76], s[50:51], v[69:70]
	s_delay_alu instid0(VALU_DEP_3) | instskip(SKIP_1) | instid1(VALU_DEP_4)
	v_add_f64_e32 v[14:15], v[87:88], v[14:15]
	v_mul_f64_e32 v[87:88], s[8:9], v[42:43]
	v_add_f64_e32 v[18:19], v[20:21], v[18:19]
	s_delay_alu instid0(VALU_DEP_2) | instskip(SKIP_2) | instid1(VALU_DEP_3)
	v_fma_f64 v[99:100], v[54:55], s[0:1], v[87:88]
	v_fma_f64 v[20:21], v[54:55], s[0:1], -v[87:88]
	v_mul_f64_e32 v[87:88], s[50:51], v[73:74]
	v_add_f64_e32 v[12:13], v[99:100], v[12:13]
	v_mul_f64_e32 v[99:100], s[8:9], v[52:53]
	s_delay_alu instid0(VALU_DEP_4) | instskip(NEXT) | instid1(VALU_DEP_2)
	v_add_f64_e32 v[16:17], v[20:21], v[16:17]
	v_fma_f64 v[101:102], v[50:51], s[0:1], -v[99:100]
	v_fma_f64 v[20:21], v[50:51], s[0:1], v[99:100]
	v_mul_f64_e32 v[99:100], s[8:9], v[71:72]
	s_delay_alu instid0(VALU_DEP_3) | instskip(SKIP_1) | instid1(VALU_DEP_4)
	v_add_f64_e32 v[14:15], v[101:102], v[14:15]
	v_mul_f64_e32 v[101:102], s[22:23], v[34:35]
	v_add_f64_e32 v[18:19], v[20:21], v[18:19]
	s_delay_alu instid0(VALU_DEP_2) | instskip(SKIP_2) | instid1(VALU_DEP_3)
	v_fma_f64 v[113:114], v[48:49], s[12:13], v[101:102]
	v_fma_f64 v[20:21], v[48:49], s[12:13], -v[101:102]
	v_mul_f64_e32 v[101:102], s[20:21], v[56:57]
	v_add_f64_e32 v[12:13], v[113:114], v[12:13]
	v_mul_f64_e32 v[113:114], s[22:23], v[46:47]
	s_delay_alu instid0(VALU_DEP_4) | instskip(NEXT) | instid1(VALU_DEP_2)
	;; [unrolled: 15-line block ×3, first 2 shown]
	v_add_f64_e32 v[16:17], v[20:21], v[16:17]
	v_fma_f64 v[20:21], v[36:37], s[2:3], v[149:150]
	v_fma_f64 v[151:152], v[36:37], s[2:3], -v[149:150]
	v_mul_f64_e32 v[149:150], s[22:23], v[32:33]
	s_delay_alu instid0(VALU_DEP_3) | instskip(SKIP_1) | instid1(VALU_DEP_4)
	v_add_f64_e32 v[20:21], v[20:21], v[18:19]
	v_fma_f64 v[18:19], v[26:27], s[30:31], -v[153:154]
	v_add_f64_e32 v[151:152], v[151:152], v[14:15]
	v_fma_f64 v[14:15], v[26:27], s[30:31], v[153:154]
	s_delay_alu instid0(VALU_DEP_3)
	v_add_f64_e32 v[18:19], v[18:19], v[16:17]
	v_add_f64_e32 v[16:17], v[22:23], v[20:21]
	v_fma_f64 v[20:21], v[81:82], s[30:31], v[75:76]
	v_fma_f64 v[22:23], v[85:86], s[30:31], -v[87:88]
	v_add_f64_e32 v[14:15], v[14:15], v[12:13]
	v_fma_f64 v[12:13], v[24:25], s[30:31], -v[155:156]
	v_mul_f64_e32 v[155:156], s[46:47], v[30:31]
	v_fma_f64 v[75:76], v[81:82], s[30:31], -v[75:76]
	v_fma_f64 v[87:88], v[85:86], s[30:31], v[87:88]
	v_add_f64_e32 v[20:21], v[20:21], v[103:104]
	v_add_f64_e32 v[22:23], v[22:23], v[117:118]
	v_mul_f64_e32 v[103:104], s[20:21], v[60:61]
	v_mul_f64_e32 v[117:118], s[34:35], v[34:35]
	v_add_f64_e32 v[12:13], v[12:13], v[151:152]
	v_mul_f64_e32 v[151:152], s[22:23], v[40:41]
	v_add_f64_e32 v[75:76], v[75:76], v[129:130]
	v_add_f64_e32 v[87:88], v[87:88], v[91:92]
	;; [unrolled: 1-line block ×3, first 2 shown]
	v_mul_f64_e32 v[137:138], s[42:43], v[56:57]
	v_add_f64_e32 v[20:21], v[62:63], v[20:21]
	v_fma_f64 v[62:63], v[83:84], s[0:1], -v[99:100]
	v_fma_f64 v[99:100], v[83:84], s[0:1], v[99:100]
	v_add_f64_e32 v[75:76], v[89:90], v[75:76]
	s_delay_alu instid0(VALU_DEP_3) | instskip(SKIP_3) | instid1(VALU_DEP_3)
	v_add_f64_e32 v[22:23], v[62:63], v[22:23]
	v_fma_f64 v[62:63], v[77:78], s[14:15], v[101:102]
	v_fma_f64 v[101:102], v[77:78], s[14:15], -v[101:102]
	v_add_f64_e32 v[87:88], v[99:100], v[87:88]
	v_add_f64_e32 v[20:21], v[62:63], v[20:21]
	v_fma_f64 v[62:63], v[58:59], s[14:15], -v[103:104]
	v_fma_f64 v[103:104], v[58:59], s[14:15], v[103:104]
	v_add_f64_e32 v[75:76], v[101:102], v[75:76]
	s_delay_alu instid0(VALU_DEP_3) | instskip(SKIP_2) | instid1(VALU_DEP_2)
	v_add_f64_e32 v[22:23], v[62:63], v[22:23]
	v_fma_f64 v[62:63], v[54:55], s[26:27], v[113:114]
	v_fma_f64 v[113:114], v[54:55], s[26:27], -v[113:114]
	v_add_f64_e32 v[20:21], v[62:63], v[20:21]
	v_fma_f64 v[62:63], v[50:51], s[26:27], -v[115:116]
	s_delay_alu instid0(VALU_DEP_3) | instskip(SKIP_1) | instid1(VALU_DEP_3)
	v_add_f64_e32 v[75:76], v[113:114], v[75:76]
	v_fma_f64 v[113:114], v[50:51], s[26:27], v[115:116]
	v_add_f64_e32 v[22:23], v[62:63], v[22:23]
	v_fma_f64 v[62:63], v[48:49], s[2:3], v[117:118]
	v_fma_f64 v[117:118], v[48:49], s[2:3], -v[117:118]
	s_delay_alu instid0(VALU_DEP_2) | instskip(SKIP_1) | instid1(VALU_DEP_3)
	v_add_f64_e32 v[20:21], v[62:63], v[20:21]
	v_fma_f64 v[62:63], v[44:45], s[2:3], -v[147:148]
	v_add_f64_e32 v[75:76], v[117:118], v[75:76]
	v_fma_f64 v[117:118], v[44:45], s[2:3], v[147:148]
	s_delay_alu instid0(VALU_DEP_3) | instskip(SKIP_1) | instid1(VALU_DEP_1)
	v_add_f64_e32 v[22:23], v[62:63], v[22:23]
	v_fma_f64 v[62:63], v[38:39], s[12:13], v[149:150]
	v_add_f64_e32 v[20:21], v[62:63], v[20:21]
	v_fma_f64 v[62:63], v[36:37], s[12:13], -v[151:152]
	s_delay_alu instid0(VALU_DEP_1) | instskip(SKIP_1) | instid1(VALU_DEP_1)
	v_add_f64_e32 v[153:154], v[62:63], v[22:23]
	v_mul_f64_e32 v[62:63], s[46:47], v[28:29]
	v_fma_f64 v[22:23], v[26:27], s[18:19], v[62:63]
	s_delay_alu instid0(VALU_DEP_1) | instskip(SKIP_1) | instid1(VALU_DEP_1)
	v_add_f64_e32 v[22:23], v[22:23], v[20:21]
	v_fma_f64 v[20:21], v[24:25], s[18:19], -v[155:156]
	v_add_f64_e32 v[20:21], v[20:21], v[153:154]
	v_mul_f64_e32 v[153:154], s[52:53], v[69:70]
	v_mul_f64_e32 v[69:70], s[34:35], v[69:70]
	s_delay_alu instid0(VALU_DEP_2) | instskip(SKIP_1) | instid1(VALU_DEP_3)
	v_fma_f64 v[163:164], v[81:82], s[14:15], v[153:154]
	v_fma_f64 v[153:154], v[81:82], s[14:15], -v[153:154]
	v_fma_f64 v[171:172], v[81:82], s[2:3], -v[69:70]
	v_fma_f64 v[69:70], v[81:82], s[2:3], v[69:70]
	v_mul_f64_e32 v[81:82], s[52:53], v[73:74]
	v_mul_f64_e32 v[73:74], s[34:35], v[73:74]
	v_add_f64_e32 v[91:92], v[163:164], v[105:106]
	s_delay_alu instid0(VALU_DEP_4) | instskip(NEXT) | instid1(VALU_DEP_4)
	v_add_f64_e32 v[69:70], v[69:70], v[143:144]
	v_fma_f64 v[179:180], v[85:86], s[14:15], -v[81:82]
	v_fma_f64 v[81:82], v[85:86], s[14:15], v[81:82]
	v_fma_f64 v[187:188], v[85:86], s[2:3], v[73:74]
	v_fma_f64 v[73:74], v[85:86], s[2:3], -v[73:74]
	v_mul_f64_e32 v[85:86], s[40:41], v[67:68]
	v_mul_f64_e32 v[67:68], s[36:37], v[67:68]
	v_add_f64_e32 v[105:106], v[179:180], v[119:120]
	v_add_f64_e32 v[119:120], v[153:154], v[131:132]
	v_add_f64_e32 v[81:82], v[81:82], v[93:94]
	v_add_f64_e32 v[93:94], v[165:166], v[107:108]
	v_fma_f64 v[195:196], v[79:80], s[2:3], v[85:86]
	v_fma_f64 v[85:86], v[79:80], s[2:3], -v[85:86]
	v_fma_f64 v[203:204], v[79:80], s[18:19], -v[67:68]
	v_fma_f64 v[67:68], v[79:80], s[18:19], v[67:68]
	v_mul_f64_e32 v[79:80], s[40:41], v[71:72]
	v_mul_f64_e32 v[71:72], s[36:37], v[71:72]
	v_add_f64_e32 v[107:108], v[181:182], v[121:122]
	v_add_f64_e32 v[121:122], v[157:158], v[133:134]
	;; [unrolled: 1-line block ×4, first 2 shown]
	v_mul_f64_e32 v[139:140], s[50:51], v[56:57]
	v_mul_f64_e32 v[141:142], s[22:23], v[56:57]
	v_fma_f64 v[157:158], v[77:78], s[0:1], v[137:138]
	v_fma_f64 v[137:138], v[77:78], s[0:1], -v[137:138]
	v_add_f64_e32 v[73:74], v[73:74], v[145:146]
	v_add_f64_e32 v[89:90], v[195:196], v[91:92]
	;; [unrolled: 1-line block ×4, first 2 shown]
	v_mul_f64_e32 v[129:130], s[50:51], v[60:61]
	v_fma_f64 v[211:212], v[83:84], s[2:3], -v[79:80]
	v_fma_f64 v[79:80], v[83:84], s[2:3], v[79:80]
	v_fma_f64 v[219:220], v[83:84], s[18:19], v[71:72]
	v_fma_f64 v[71:72], v[83:84], s[18:19], -v[71:72]
	v_add_f64_e32 v[83:84], v[171:172], v[111:112]
	v_add_f64_e32 v[111:112], v[187:188], v[127:128]
	v_add_f64_e32 v[127:128], v[167:168], v[135:136]
	v_mul_f64_e32 v[135:136], s[36:37], v[56:57]
	v_mul_f64_e32 v[56:57], s[28:29], v[56:57]
	v_fma_f64 v[159:160], v[77:78], s[30:31], -v[139:140]
	v_fma_f64 v[139:140], v[77:78], s[30:31], v[139:140]
	v_fma_f64 v[161:162], v[77:78], s[12:13], -v[141:142]
	v_fma_f64 v[141:142], v[77:78], s[12:13], v[141:142]
	v_add_f64_e32 v[99:100], v[189:190], v[121:122]
	v_add_f64_e32 v[121:122], v[193:194], v[131:132]
	v_mul_f64_e32 v[131:132], s[22:23], v[60:61]
	v_fma_f64 v[145:146], v[58:59], s[30:31], v[129:130]
	v_add_f64_e32 v[91:92], v[211:212], v[105:106]
	v_add_f64_e32 v[79:80], v[79:80], v[81:82]
	;; [unrolled: 1-line block ×7, first 2 shown]
	v_fma_f64 v[153:154], v[77:78], s[18:19], v[135:136]
	v_fma_f64 v[135:136], v[77:78], s[18:19], -v[135:136]
	v_fma_f64 v[163:164], v[77:78], s[26:27], -v[56:57]
	v_fma_f64 v[56:57], v[77:78], s[26:27], v[56:57]
	v_add_f64_e32 v[77:78], v[203:204], v[83:84]
	v_add_f64_e32 v[83:84], v[219:220], v[111:112]
	;; [unrolled: 1-line block ×3, first 2 shown]
	v_mul_f64_e32 v[125:126], s[36:37], v[60:61]
	v_mul_f64_e32 v[127:128], s[42:43], v[60:61]
	;; [unrolled: 1-line block ×3, first 2 shown]
	v_fma_f64 v[129:130], v[58:59], s[30:31], -v[129:130]
	v_fma_f64 v[165:166], v[58:59], s[12:13], v[131:132]
	v_fma_f64 v[131:132], v[58:59], s[12:13], -v[131:132]
	v_add_f64_e32 v[81:82], v[157:158], v[81:82]
	v_add_f64_e32 v[101:102], v[145:146], v[107:108]
	;; [unrolled: 1-line block ×3, first 2 shown]
	v_fma_f64 v[133:134], v[58:59], s[18:19], -v[125:126]
	v_fma_f64 v[125:126], v[58:59], s[18:19], v[125:126]
	v_fma_f64 v[143:144], v[58:59], s[0:1], -v[127:128]
	v_fma_f64 v[127:128], v[58:59], s[0:1], v[127:128]
	v_fma_f64 v[167:168], v[58:59], s[26:27], v[60:61]
	v_fma_f64 v[58:59], v[58:59], s[26:27], -v[60:61]
	v_add_f64_e32 v[60:61], v[67:68], v[69:70]
	v_add_f64_e32 v[67:68], v[71:72], v[73:74]
	;; [unrolled: 1-line block ×3, first 2 shown]
	v_mul_f64_e32 v[109:110], s[38:39], v[42:43]
	v_add_f64_e32 v[69:70], v[163:164], v[77:78]
	v_add_f64_e32 v[77:78], v[165:166], v[111:112]
	;; [unrolled: 1-line block ×11, first 2 shown]
	v_fma_f64 v[111:112], v[54:55], s[30:31], -v[109:110]
	v_add_f64_e32 v[91:92], v[143:144], v[93:94]
	v_add_f64_e32 v[93:94], v[137:138], v[99:100]
	v_add_f64_e32 v[99:100], v[159:160], v[105:106]
	v_add_f64_e32 v[105:106], v[141:142], v[121:122]
	v_add_f64_e32 v[56:57], v[56:57], v[60:61]
	v_mul_f64_e32 v[60:61], s[36:37], v[52:53]
	v_add_f64_e32 v[58:59], v[58:59], v[67:68]
	v_add_f64_e32 v[83:84], v[113:114], v[83:84]
	v_mul_f64_e32 v[113:114], s[22:23], v[42:43]
	v_add_f64_e32 v[69:70], v[111:112], v[69:70]
	v_mul_f64_e32 v[111:112], s[38:39], v[52:53]
	s_delay_alu instid0(VALU_DEP_4) | instskip(NEXT) | instid1(VALU_DEP_4)
	v_add_f64_e32 v[83:84], v[117:118], v[83:84]
	v_fma_f64 v[115:116], v[54:55], s[12:13], v[113:114]
	v_fma_f64 v[113:114], v[54:55], s[12:13], -v[113:114]
	v_mul_f64_e32 v[117:118], s[48:49], v[34:35]
	v_fma_f64 v[119:120], v[50:51], s[30:31], v[111:112]
	s_delay_alu instid0(VALU_DEP_4) | instskip(SKIP_2) | instid1(VALU_DEP_4)
	v_add_f64_e32 v[87:88], v[115:116], v[87:88]
	v_mul_f64_e32 v[115:116], s[22:23], v[52:53]
	v_add_f64_e32 v[85:86], v[113:114], v[85:86]
	v_add_f64_e32 v[71:72], v[119:120], v[71:72]
	v_mul_f64_e32 v[119:120], s[52:53], v[42:43]
	s_delay_alu instid0(VALU_DEP_4) | instskip(NEXT) | instid1(VALU_DEP_2)
	v_fma_f64 v[113:114], v[50:51], s[12:13], v[115:116]
	v_fma_f64 v[121:122], v[54:55], s[14:15], -v[119:120]
	v_fma_f64 v[119:120], v[54:55], s[14:15], v[119:120]
	s_delay_alu instid0(VALU_DEP_3)
	v_add_f64_e32 v[79:80], v[113:114], v[79:80]
	v_mul_f64_e32 v[113:114], s[36:37], v[42:43]
	v_mul_f64_e32 v[42:43], s[40:41], v[42:43]
	v_add_f64_e32 v[73:74], v[121:122], v[73:74]
	v_mul_f64_e32 v[121:122], s[52:53], v[52:53]
	v_mul_f64_e32 v[52:53], s[40:41], v[52:53]
	s_delay_alu instid0(VALU_DEP_2) | instskip(NEXT) | instid1(VALU_DEP_2)
	v_fma_f64 v[123:124], v[50:51], s[14:15], v[121:122]
	v_fma_f64 v[143:144], v[50:51], s[2:3], v[52:53]
	v_fma_f64 v[52:53], v[50:51], s[2:3], -v[52:53]
	v_fma_f64 v[121:122], v[50:51], s[14:15], -v[121:122]
	s_delay_alu instid0(VALU_DEP_4)
	v_add_f64_e32 v[77:78], v[123:124], v[77:78]
	v_fma_f64 v[123:124], v[50:51], s[12:13], -v[115:116]
	v_fma_f64 v[115:116], v[54:55], s[18:19], v[113:114]
	v_fma_f64 v[113:114], v[54:55], s[18:19], -v[113:114]
	v_add_f64_e32 v[52:53], v[52:53], v[97:98]
	v_add_f64_e32 v[97:98], v[121:122], v[107:108]
	;; [unrolled: 1-line block ×4, first 2 shown]
	v_mul_f64_e32 v[115:116], s[24:25], v[34:35]
	s_delay_alu instid0(VALU_DEP_1) | instskip(NEXT) | instid1(VALU_DEP_1)
	v_fma_f64 v[123:124], v[48:49], s[16:17], -v[115:116]
	v_add_f64_e32 v[69:70], v[123:124], v[69:70]
	v_mul_f64_e32 v[123:124], s[24:25], v[46:47]
	s_delay_alu instid0(VALU_DEP_1) | instskip(NEXT) | instid1(VALU_DEP_1)
	v_fma_f64 v[125:126], v[44:45], s[16:17], v[123:124]
	v_add_f64_e32 v[71:72], v[125:126], v[71:72]
	v_mul_f64_e32 v[125:126], s[50:51], v[34:35]
	s_delay_alu instid0(VALU_DEP_1) | instskip(NEXT) | instid1(VALU_DEP_1)
	v_fma_f64 v[127:128], v[48:49], s[30:31], -v[125:126]
	v_add_f64_e32 v[73:74], v[127:128], v[73:74]
	v_mul_f64_e32 v[127:128], s[50:51], v[46:47]
	s_delay_alu instid0(VALU_DEP_1) | instskip(NEXT) | instid1(VALU_DEP_1)
	v_fma_f64 v[129:130], v[44:45], s[30:31], v[127:128]
	v_add_f64_e32 v[77:78], v[129:130], v[77:78]
	v_fma_f64 v[129:130], v[48:49], s[26:27], v[117:118]
	v_fma_f64 v[117:118], v[48:49], s[26:27], -v[117:118]
	s_delay_alu instid0(VALU_DEP_2) | instskip(SKIP_1) | instid1(VALU_DEP_3)
	v_add_f64_e32 v[87:88], v[129:130], v[87:88]
	v_mul_f64_e32 v[129:130], s[48:49], v[46:47]
	v_add_f64_e32 v[85:86], v[117:118], v[85:86]
	s_delay_alu instid0(VALU_DEP_2) | instskip(SKIP_1) | instid1(VALU_DEP_2)
	v_fma_f64 v[117:118], v[44:45], s[26:27], v[129:130]
	v_fma_f64 v[131:132], v[44:45], s[26:27], -v[129:130]
	v_add_f64_e32 v[79:80], v[117:118], v[79:80]
	v_mul_f64_e32 v[117:118], s[20:21], v[34:35]
	s_delay_alu instid0(VALU_DEP_3) | instskip(SKIP_1) | instid1(VALU_DEP_3)
	v_add_f64_e32 v[89:90], v[131:132], v[89:90]
	v_mul_f64_e32 v[34:35], s[8:9], v[34:35]
	v_fma_f64 v[129:130], v[48:49], s[14:15], v[117:118]
	s_delay_alu instid0(VALU_DEP_1) | instskip(SKIP_1) | instid1(VALU_DEP_1)
	v_add_f64_e32 v[81:82], v[129:130], v[81:82]
	v_mul_f64_e32 v[129:130], s[20:21], v[32:33]
	v_fma_f64 v[131:132], v[38:39], s[14:15], -v[129:130]
	s_delay_alu instid0(VALU_DEP_1) | instskip(SKIP_1) | instid1(VALU_DEP_1)
	v_add_f64_e32 v[69:70], v[131:132], v[69:70]
	v_mul_f64_e32 v[131:132], s[20:21], v[40:41]
	v_fma_f64 v[133:134], v[36:37], s[14:15], v[131:132]
	s_delay_alu instid0(VALU_DEP_1) | instskip(SKIP_1) | instid1(VALU_DEP_1)
	v_add_f64_e32 v[71:72], v[133:134], v[71:72]
	v_mul_f64_e32 v[133:134], s[46:47], v[32:33]
	v_fma_f64 v[135:136], v[38:39], s[18:19], -v[133:134]
	s_delay_alu instid0(VALU_DEP_1) | instskip(SKIP_1) | instid1(VALU_DEP_1)
	v_add_f64_e32 v[73:74], v[135:136], v[73:74]
	v_mul_f64_e32 v[135:136], s[46:47], v[40:41]
	v_fma_f64 v[137:138], v[36:37], s[18:19], v[135:136]
	s_delay_alu instid0(VALU_DEP_1) | instskip(SKIP_1) | instid1(VALU_DEP_1)
	v_add_f64_e32 v[77:78], v[137:138], v[77:78]
	v_fma_f64 v[137:138], v[38:39], s[12:13], -v[149:150]
	v_add_f64_e32 v[75:76], v[137:138], v[75:76]
	v_fma_f64 v[137:138], v[36:37], s[12:13], v[151:152]
	s_delay_alu instid0(VALU_DEP_1) | instskip(SKIP_1) | instid1(VALU_DEP_1)
	v_add_f64_e32 v[83:84], v[137:138], v[83:84]
	v_mul_f64_e32 v[137:138], s[8:9], v[32:33]
	v_fma_f64 v[139:140], v[38:39], s[0:1], v[137:138]
	s_delay_alu instid0(VALU_DEP_1) | instskip(SKIP_1) | instid1(VALU_DEP_1)
	v_add_f64_e32 v[87:88], v[139:140], v[87:88]
	v_mul_f64_e32 v[139:140], s[8:9], v[40:41]
	v_fma_f64 v[141:142], v[36:37], s[0:1], -v[139:140]
	s_delay_alu instid0(VALU_DEP_1)
	v_add_f64_e32 v[89:90], v[141:142], v[89:90]
	v_fma_f64 v[141:142], v[54:55], s[2:3], -v[42:43]
	v_fma_f64 v[42:43], v[54:55], s[2:3], v[42:43]
	v_fma_f64 v[54:55], v[54:55], s[30:31], v[109:110]
	v_fma_f64 v[109:110], v[50:51], s[18:19], -v[60:61]
	v_fma_f64 v[60:61], v[50:51], s[18:19], v[60:61]
	v_fma_f64 v[50:51], v[50:51], s[30:31], -v[111:112]
	v_fma_f64 v[111:112], v[44:45], s[30:31], -v[127:128]
	v_add_f64_e32 v[42:43], v[42:43], v[103:104]
	v_add_f64_e32 v[54:55], v[54:55], v[56:57]
	v_mul_f64_e32 v[56:57], s[20:21], v[46:47]
	v_add_f64_e32 v[60:61], v[60:61], v[95:96]
	v_fma_f64 v[103:104], v[48:49], s[0:1], -v[34:35]
	v_fma_f64 v[34:35], v[48:49], s[0:1], v[34:35]
	v_mul_f64_e32 v[46:47], s[8:9], v[46:47]
	v_add_f64_e32 v[67:68], v[109:110], v[91:92]
	v_add_f64_e32 v[91:92], v[113:114], v[93:94]
	;; [unrolled: 1-line block ×4, first 2 shown]
	v_fma_f64 v[101:102], v[48:49], s[14:15], -v[117:118]
	v_add_f64_e32 v[95:96], v[119:120], v[105:106]
	v_fma_f64 v[105:106], v[48:49], s[30:31], v[125:126]
	v_fma_f64 v[48:49], v[48:49], s[16:17], v[115:116]
	v_add_f64_e32 v[50:51], v[50:51], v[58:59]
	v_mul_f64_e32 v[113:114], s[42:43], v[28:29]
	v_add_f64_e32 v[97:98], v[111:112], v[97:98]
	v_fma_f64 v[111:112], v[36:37], s[18:19], -v[135:136]
	v_fma_f64 v[107:108], v[44:45], s[14:15], -v[56:57]
	v_fma_f64 v[56:57], v[44:45], s[14:15], v[56:57]
	v_add_f64_e32 v[34:35], v[34:35], v[42:43]
	v_fma_f64 v[109:110], v[44:45], s[0:1], v[46:47]
	v_fma_f64 v[46:47], v[44:45], s[0:1], -v[46:47]
	v_mul_f64_e32 v[42:43], s[44:45], v[40:41]
	v_fma_f64 v[44:45], v[44:45], s[16:17], -v[123:124]
	v_mul_f64_e32 v[40:41], s[28:29], v[40:41]
	v_add_f64_e32 v[95:96], v[105:106], v[95:96]
	v_add_f64_e32 v[48:49], v[48:49], v[54:55]
	;; [unrolled: 1-line block ×3, first 2 shown]
	v_fma_f64 v[111:112], v[26:27], s[0:1], v[113:114]
	v_add_f64_e32 v[58:59], v[107:108], v[67:68]
	v_add_f64_e32 v[56:57], v[56:57], v[60:61]
	v_mul_f64_e32 v[60:61], s[44:45], v[32:33]
	v_add_f64_e32 v[67:68], v[101:102], v[91:92]
	v_add_f64_e32 v[91:92], v[103:104], v[93:94]
	;; [unrolled: 1-line block ×3, first 2 shown]
	v_fma_f64 v[99:100], v[38:39], s[0:1], -v[137:138]
	v_fma_f64 v[101:102], v[36:37], s[0:1], v[139:140]
	v_add_f64_e32 v[46:47], v[46:47], v[52:53]
	v_fma_f64 v[103:104], v[36:37], s[16:17], -v[42:43]
	v_mul_f64_e32 v[32:33], s[28:29], v[32:33]
	v_fma_f64 v[107:108], v[38:39], s[18:19], v[133:134]
	v_mul_f64_e32 v[109:110], s[22:23], v[28:29]
	v_fma_f64 v[54:55], v[36:37], s[26:27], v[40:41]
	v_fma_f64 v[40:41], v[36:37], s[26:27], -v[40:41]
	v_add_f64_e32 v[44:45], v[44:45], v[50:51]
	v_mul_f64_e32 v[50:51], s[42:43], v[30:31]
	v_fma_f64 v[42:43], v[36:37], s[16:17], v[42:43]
	v_fma_f64 v[36:37], v[36:37], s[14:15], -v[131:132]
	v_fma_f64 v[52:53], v[38:39], s[16:17], v[60:61]
	v_fma_f64 v[60:61], v[38:39], s[16:17], -v[60:61]
	v_add_f64_e32 v[85:86], v[99:100], v[85:86]
	v_mul_f64_e32 v[99:100], s[24:25], v[28:29]
	v_add_f64_e32 v[79:80], v[101:102], v[79:80]
	v_mul_f64_e32 v[101:102], s[40:41], v[28:29]
	v_mul_f64_e32 v[28:29], s[20:21], v[28:29]
	v_add_f64_e32 v[58:59], v[103:104], v[58:59]
	v_mul_f64_e32 v[103:104], s[40:41], v[30:31]
	v_fma_f64 v[105:106], v[38:39], s[26:27], -v[32:33]
	v_fma_f64 v[32:33], v[38:39], s[26:27], v[32:33]
	v_fma_f64 v[38:39], v[38:39], s[14:15], v[129:130]
	v_add_f64_e32 v[117:118], v[40:41], v[46:47]
	v_add_f64_e32 v[95:96], v[107:108], v[95:96]
	v_add_f64_e32 v[54:55], v[54:55], v[93:94]
	v_fma_f64 v[93:94], v[26:27], s[0:1], -v[113:114]
	v_add_f64_e32 v[56:57], v[42:43], v[56:57]
	v_fma_f64 v[42:43], v[24:25], s[0:1], v[50:51]
	v_fma_f64 v[125:126], v[24:25], s[0:1], -v[50:51]
	v_add_f64_e32 v[129:130], v[36:37], v[44:45]
	v_add_f64_e32 v[52:53], v[52:53], v[81:82]
	v_mul_f64_e32 v[81:82], s[24:25], v[30:31]
	v_add_f64_e32 v[60:61], v[60:61], v[67:68]
	v_mul_f64_e32 v[67:68], s[20:21], v[30:31]
	v_mul_f64_e32 v[30:31], s[22:23], v[30:31]
	v_fma_f64 v[119:120], v[26:27], s[16:17], v[99:100]
	v_fma_f64 v[40:41], v[26:27], s[16:17], -v[99:100]
	v_fma_f64 v[99:100], v[26:27], s[2:3], v[101:102]
	v_fma_f64 v[46:47], v[26:27], s[2:3], -v[101:102]
	v_fma_f64 v[101:102], v[26:27], s[14:15], -v[28:29]
	v_fma_f64 v[107:108], v[26:27], s[14:15], v[28:29]
	v_fma_f64 v[123:124], v[24:25], s[2:3], -v[103:104]
	v_add_f64_e32 v[115:116], v[32:33], v[34:35]
	v_fma_f64 v[32:33], v[26:27], s[18:19], -v[62:63]
	v_fma_f64 v[62:63], v[24:25], s[18:19], v[155:156]
	v_add_f64_e32 v[121:122], v[38:39], v[48:49]
	v_fma_f64 v[48:49], v[24:25], s[2:3], v[103:104]
	v_add_f64_e32 v[91:92], v[105:106], v[91:92]
	v_fma_f64 v[105:106], v[26:27], s[12:13], -v[109:110]
	v_fma_f64 v[109:110], v[26:27], s[12:13], v[109:110]
	v_fma_f64 v[113:114], v[24:25], s[16:17], -v[81:82]
	v_fma_f64 v[81:82], v[24:25], s[16:17], v[81:82]
	v_fma_f64 v[103:104], v[24:25], s[14:15], v[67:68]
	;; [unrolled: 1-line block ×3, first 2 shown]
	v_fma_f64 v[67:68], v[24:25], s[14:15], -v[67:68]
	v_fma_f64 v[127:128], v[24:25], s[12:13], -v[30:31]
	v_add_f64_e32 v[30:31], v[93:94], v[73:74]
	v_add_f64_e32 v[38:39], v[40:41], v[85:86]
	;; [unrolled: 1-line block ×13, first 2 shown]
	s_clause 0x1
	scratch_load_b32 v71, off, off offset:20 th:TH_LOAD_LU
	scratch_load_b32 v72, off, off offset:1396 th:TH_LOAD_LU
	v_add_f64_e32 v[28:29], v[42:43], v[77:78]
	v_add_f64_e32 v[42:43], v[46:47], v[60:61]
	;; [unrolled: 1-line block ×9, first 2 shown]
	s_wait_loadcnt 0x0
	v_lshl_add_u32 v71, v72, 4, v71
	ds_store_b128 v71, v[0:3]
	ds_store_b128 v71, v[24:27] offset:16
	ds_store_b128 v71, v[28:31] offset:32
	;; [unrolled: 1-line block ×16, first 2 shown]
.LBB0_13:
	s_or_b32 exec_lo, exec_lo, s33
	global_wb scope:SCOPE_SE
	s_wait_dscnt 0x0
	s_barrier_signal -1
	s_barrier_wait -1
	global_inv scope:SCOPE_SE
	ds_load_b128 v[0:3], v221 offset:1360
	ds_load_b128 v[4:7], v221 offset:1088
	scratch_load_b128 v[14:17], off, off offset:520 th:TH_LOAD_LU ; 16-byte Folded Reload
	s_mov_b32 s8, 0x134454ff
	s_mov_b32 s9, 0xbfee6f0e
	;; [unrolled: 1-line block ×3, first 2 shown]
	s_wait_alu 0xfffe
	s_mov_b32 s12, s8
	s_mov_b32 s0, 0x4755a5e
	;; [unrolled: 1-line block ×4, first 2 shown]
	s_wait_alu 0xfffe
	s_mov_b32 s2, s0
	s_mov_b32 s14, 0x372fe950
	;; [unrolled: 1-line block ×3, first 2 shown]
	s_wait_loadcnt_dscnt 0x1
	v_mul_f64_e32 v[8:9], v[16:17], v[2:3]
	s_delay_alu instid0(VALU_DEP_1) | instskip(SKIP_1) | instid1(VALU_DEP_1)
	v_fma_f64 v[52:53], v[14:15], v[0:1], v[8:9]
	v_mul_f64_e32 v[0:1], v[16:17], v[0:1]
	v_fma_f64 v[54:55], v[14:15], v[2:3], -v[0:1]
	ds_load_b128 v[0:3], v221 offset:1632
	ds_load_b128 v[8:11], v221 offset:1904
	s_wait_dscnt 0x1
	v_mul_f64_e32 v[12:13], v[16:17], v[2:3]
	s_delay_alu instid0(VALU_DEP_1) | instskip(SKIP_1) | instid1(VALU_DEP_1)
	v_fma_f64 v[71:72], v[14:15], v[0:1], v[12:13]
	v_mul_f64_e32 v[0:1], v[16:17], v[0:1]
	v_fma_f64 v[73:74], v[14:15], v[2:3], -v[0:1]
	ds_load_b128 v[0:3], v221 offset:2720
	ds_load_b128 v[12:15], v221 offset:2992
	scratch_load_b128 v[18:21], off, off offset:504 th:TH_LOAD_LU ; 16-byte Folded Reload
	s_wait_loadcnt_dscnt 0x1
	v_mul_f64_e32 v[16:17], v[20:21], v[2:3]
	s_delay_alu instid0(VALU_DEP_1) | instskip(SKIP_1) | instid1(VALU_DEP_1)
	v_fma_f64 v[56:57], v[18:19], v[0:1], v[16:17]
	v_mul_f64_e32 v[0:1], v[20:21], v[0:1]
	v_fma_f64 v[58:59], v[18:19], v[2:3], -v[0:1]
	s_wait_dscnt 0x0
	v_mul_f64_e32 v[0:1], v[20:21], v[14:15]
	s_delay_alu instid0(VALU_DEP_1) | instskip(SKIP_1) | instid1(VALU_DEP_1)
	v_fma_f64 v[75:76], v[18:19], v[12:13], v[0:1]
	v_mul_f64_e32 v[0:1], v[20:21], v[12:13]
	v_fma_f64 v[77:78], v[18:19], v[14:15], -v[0:1]
	ds_load_b128 v[0:3], v221 offset:4080
	ds_load_b128 v[16:19], v221 offset:3808
	scratch_load_b128 v[22:25], off, off offset:488 th:TH_LOAD_LU ; 16-byte Folded Reload
	s_wait_loadcnt_dscnt 0x1
	v_mul_f64_e32 v[12:13], v[24:25], v[2:3]
	s_delay_alu instid0(VALU_DEP_1) | instskip(SKIP_1) | instid1(VALU_DEP_2)
	v_fma_f64 v[60:61], v[22:23], v[0:1], v[12:13]
	v_mul_f64_e32 v[0:1], v[24:25], v[0:1]
	v_add_f64_e32 v[44:45], v[56:57], v[60:61]
	s_delay_alu instid0(VALU_DEP_2)
	v_fma_f64 v[62:63], v[22:23], v[2:3], -v[0:1]
	ds_load_b128 v[0:3], v221 offset:4352
	ds_load_b128 v[12:15], v221 offset:4624
	v_add_f64_e64 v[113:114], v[56:57], -v[60:61]
	s_wait_dscnt 0x1
	v_mul_f64_e32 v[20:21], v[24:25], v[2:3]
	v_add_f64_e64 v[93:94], v[58:59], -v[62:63]
	s_delay_alu instid0(VALU_DEP_2) | instskip(SKIP_1) | instid1(VALU_DEP_1)
	v_fma_f64 v[79:80], v[22:23], v[0:1], v[20:21]
	v_mul_f64_e32 v[0:1], v[24:25], v[0:1]
	v_fma_f64 v[81:82], v[22:23], v[2:3], -v[0:1]
	ds_load_b128 v[0:3], v221 offset:5440
	ds_load_b128 v[20:23], v221 offset:5712
	scratch_load_b128 v[26:29], off, off offset:456 th:TH_LOAD_LU ; 16-byte Folded Reload
	s_wait_loadcnt_dscnt 0x1
	v_mul_f64_e32 v[24:25], v[28:29], v[2:3]
	s_delay_alu instid0(VALU_DEP_1) | instskip(SKIP_1) | instid1(VALU_DEP_2)
	v_fma_f64 v[67:68], v[26:27], v[0:1], v[24:25]
	v_mul_f64_e32 v[0:1], v[28:29], v[0:1]
	v_add_f64_e64 v[111:112], v[52:53], -v[67:68]
	s_delay_alu instid0(VALU_DEP_2) | instskip(SKIP_2) | instid1(VALU_DEP_2)
	v_fma_f64 v[69:70], v[26:27], v[2:3], -v[0:1]
	s_wait_dscnt 0x0
	v_mul_f64_e32 v[0:1], v[28:29], v[22:23]
	v_add_f64_e64 v[91:92], v[54:55], -v[69:70]
	s_delay_alu instid0(VALU_DEP_2) | instskip(SKIP_1) | instid1(VALU_DEP_1)
	v_fma_f64 v[83:84], v[26:27], v[20:21], v[0:1]
	v_mul_f64_e32 v[0:1], v[28:29], v[20:21]
	v_fma_f64 v[85:86], v[26:27], v[22:23], -v[0:1]
	scratch_load_b128 v[20:23], off, off offset:600 th:TH_LOAD_LU ; 16-byte Folded Reload
	s_wait_loadcnt 0x0
	v_mul_f64_e32 v[0:1], v[22:23], v[10:11]
	s_delay_alu instid0(VALU_DEP_1) | instskip(SKIP_1) | instid1(VALU_DEP_1)
	v_fma_f64 v[95:96], v[20:21], v[8:9], v[0:1]
	v_mul_f64_e32 v[0:1], v[22:23], v[8:9]
	v_fma_f64 v[97:98], v[20:21], v[10:11], -v[0:1]
	ds_load_b128 v[0:3], v221 offset:3264
	ds_load_b128 v[8:11], v221 offset:3536
	scratch_load_b128 v[22:25], off, off offset:584 th:TH_LOAD_LU ; 16-byte Folded Reload
	s_wait_loadcnt_dscnt 0x1
	v_mul_f64_e32 v[20:21], v[24:25], v[2:3]
	s_delay_alu instid0(VALU_DEP_1) | instskip(SKIP_1) | instid1(VALU_DEP_1)
	v_fma_f64 v[99:100], v[22:23], v[0:1], v[20:21]
	v_mul_f64_e32 v[0:1], v[24:25], v[0:1]
	v_fma_f64 v[101:102], v[22:23], v[2:3], -v[0:1]
	scratch_load_b128 v[20:23], off, off offset:568 th:TH_LOAD_LU ; 16-byte Folded Reload
	s_wait_loadcnt 0x0
	v_mul_f64_e32 v[0:1], v[22:23], v[14:15]
	s_delay_alu instid0(VALU_DEP_1) | instskip(SKIP_1) | instid1(VALU_DEP_2)
	v_fma_f64 v[103:104], v[20:21], v[12:13], v[0:1]
	v_mul_f64_e32 v[0:1], v[22:23], v[12:13]
	v_add_f64_e64 v[119:120], v[99:100], -v[103:104]
	s_delay_alu instid0(VALU_DEP_2)
	v_fma_f64 v[105:106], v[20:21], v[14:15], -v[0:1]
	ds_load_b128 v[0:3], v221 offset:5984
	ds_load_b128 v[12:15], v221 offset:6256
	scratch_load_b128 v[22:25], off, off offset:552 th:TH_LOAD_LU ; 16-byte Folded Reload
	v_add_f64_e64 v[115:116], v[101:102], -v[105:106]
	s_wait_loadcnt_dscnt 0x1
	v_mul_f64_e32 v[20:21], v[24:25], v[2:3]
	s_delay_alu instid0(VALU_DEP_1) | instskip(SKIP_1) | instid1(VALU_DEP_2)
	v_fma_f64 v[107:108], v[22:23], v[0:1], v[20:21]
	v_mul_f64_e32 v[0:1], v[24:25], v[0:1]
	v_add_f64_e64 v[121:122], v[95:96], -v[107:108]
	s_delay_alu instid0(VALU_DEP_2)
	v_fma_f64 v[109:110], v[22:23], v[2:3], -v[0:1]
	ds_load_b128 v[0:3], v221 offset:2176
	ds_load_b128 v[36:39], v221 offset:2448
	s_clause 0x1
	scratch_load_b128 v[22:25], off, off offset:960 th:TH_LOAD_LU
	scratch_load_b128 v[26:29], off, off offset:928 th:TH_LOAD_LU
	v_add_f64_e64 v[117:118], v[97:98], -v[109:110]
	s_wait_loadcnt_dscnt 0x101
	v_mul_f64_e32 v[20:21], v[24:25], v[2:3]
	s_delay_alu instid0(VALU_DEP_1) | instskip(SKIP_1) | instid1(VALU_DEP_1)
	v_fma_f64 v[20:21], v[22:23], v[0:1], v[20:21]
	v_mul_f64_e32 v[0:1], v[24:25], v[0:1]
	v_fma_f64 v[22:23], v[22:23], v[2:3], -v[0:1]
	s_wait_loadcnt 0x0
	v_mul_f64_e32 v[0:1], v[28:29], v[10:11]
	s_delay_alu instid0(VALU_DEP_1) | instskip(SKIP_1) | instid1(VALU_DEP_1)
	v_fma_f64 v[24:25], v[26:27], v[8:9], v[0:1]
	v_mul_f64_e32 v[0:1], v[28:29], v[8:9]
	v_fma_f64 v[26:27], v[26:27], v[10:11], -v[0:1]
	ds_load_b128 v[0:3], v221 offset:4896
	ds_load_b128 v[40:43], v221 offset:5168
	scratch_load_b128 v[30:33], off, off offset:976 th:TH_LOAD_LU ; 16-byte Folded Reload
	s_wait_loadcnt_dscnt 0x1
	v_mul_f64_e32 v[8:9], v[32:33], v[2:3]
	s_delay_alu instid0(VALU_DEP_1) | instskip(SKIP_2) | instid1(VALU_DEP_1)
	v_fma_f64 v[28:29], v[30:31], v[0:1], v[8:9]
	scratch_load_b128 v[8:11], off, off offset:944 th:TH_LOAD_LU ; 16-byte Folded Reload
	v_mul_f64_e32 v[0:1], v[32:33], v[0:1]
	v_fma_f64 v[30:31], v[30:31], v[2:3], -v[0:1]
	s_wait_loadcnt 0x0
	v_mul_f64_e32 v[0:1], v[10:11], v[14:15]
	s_delay_alu instid0(VALU_DEP_1)
	v_fma_f64 v[32:33], v[8:9], v[12:13], v[0:1]
	v_mul_f64_e32 v[0:1], v[10:11], v[12:13]
	scratch_load_b128 v[10:13], off, off offset:1024 th:TH_LOAD_LU ; 16-byte Folded Reload
	v_fma_f64 v[34:35], v[8:9], v[14:15], -v[0:1]
	s_wait_loadcnt 0x0
	v_mul_f64_e32 v[0:1], v[12:13], v[38:39]
	s_delay_alu instid0(VALU_DEP_1) | instskip(SKIP_1) | instid1(VALU_DEP_1)
	v_fma_f64 v[8:9], v[10:11], v[36:37], v[0:1]
	v_mul_f64_e32 v[0:1], v[12:13], v[36:37]
	v_fma_f64 v[0:1], v[10:11], v[38:39], -v[0:1]
	scratch_load_b128 v[10:13], off, off offset:992 th:TH_LOAD_LU ; 16-byte Folded Reload
	ds_load_b128 v[36:39], v221 offset:6528
	s_wait_loadcnt 0x0
	v_mul_f64_e32 v[2:3], v[12:13], v[18:19]
	s_delay_alu instid0(VALU_DEP_1) | instskip(SKIP_1) | instid1(VALU_DEP_1)
	v_fma_f64 v[14:15], v[10:11], v[16:17], v[2:3]
	v_mul_f64_e32 v[2:3], v[12:13], v[16:17]
	v_fma_f64 v[2:3], v[10:11], v[18:19], -v[2:3]
	scratch_load_b128 v[16:19], off, off offset:1040 th:TH_LOAD_LU ; 16-byte Folded Reload
	s_wait_loadcnt_dscnt 0x1
	v_mul_f64_e32 v[10:11], v[18:19], v[42:43]
	s_delay_alu instid0(VALU_DEP_1) | instskip(SKIP_1) | instid1(VALU_DEP_1)
	v_fma_f64 v[12:13], v[16:17], v[40:41], v[10:11]
	v_mul_f64_e32 v[10:11], v[18:19], v[40:41]
	v_fma_f64 v[10:11], v[16:17], v[42:43], -v[10:11]
	scratch_load_b128 v[40:43], off, off offset:1008 th:TH_LOAD_LU ; 16-byte Folded Reload
	s_wait_loadcnt_dscnt 0x0
	v_mul_f64_e32 v[16:17], v[42:43], v[38:39]
	s_delay_alu instid0(VALU_DEP_1) | instskip(SKIP_2) | instid1(VALU_DEP_2)
	v_fma_f64 v[18:19], v[40:41], v[36:37], v[16:17]
	v_mul_f64_e32 v[16:17], v[42:43], v[36:37]
	v_add_f64_e64 v[36:37], v[52:53], -v[56:57]
	v_fma_f64 v[16:17], v[40:41], v[38:39], -v[16:17]
	v_add_f64_e64 v[38:39], v[67:68], -v[60:61]
	s_delay_alu instid0(VALU_DEP_1) | instskip(SKIP_2) | instid1(VALU_DEP_1)
	v_add_f64_e32 v[48:49], v[36:37], v[38:39]
	v_add_f64_e64 v[36:37], v[54:55], -v[58:59]
	v_add_f64_e64 v[38:39], v[69:70], -v[62:63]
	v_add_f64_e32 v[50:51], v[36:37], v[38:39]
	ds_load_b128 v[36:39], v221
	ds_load_b128 v[40:43], v221 offset:272
	s_wait_dscnt 0x1
	v_fma_f64 v[87:88], v[44:45], -0.5, v[36:37]
	v_add_f64_e32 v[44:45], v[58:59], v[62:63]
	s_delay_alu instid0(VALU_DEP_1) | instskip(NEXT) | instid1(VALU_DEP_3)
	v_fma_f64 v[89:90], v[44:45], -0.5, v[38:39]
	v_fma_f64 v[44:45], v[91:92], s[8:9], v[87:88]
	v_fma_f64 v[87:88], v[91:92], s[12:13], v[87:88]
	s_delay_alu instid0(VALU_DEP_3) | instskip(SKIP_1) | instid1(VALU_DEP_4)
	v_fma_f64 v[46:47], v[111:112], s[12:13], v[89:90]
	v_fma_f64 v[89:90], v[111:112], s[8:9], v[89:90]
	;; [unrolled: 1-line block ×3, first 2 shown]
	s_wait_alu 0xfffe
	s_delay_alu instid0(VALU_DEP_4) | instskip(NEXT) | instid1(VALU_DEP_4)
	v_fma_f64 v[87:88], v[93:94], s[2:3], v[87:88]
	v_fma_f64 v[46:47], v[113:114], s[2:3], v[46:47]
	s_delay_alu instid0(VALU_DEP_4) | instskip(NEXT) | instid1(VALU_DEP_4)
	v_fma_f64 v[89:90], v[113:114], s[0:1], v[89:90]
	v_fma_f64 v[44:45], v[48:49], s[14:15], v[44:45]
	s_delay_alu instid0(VALU_DEP_4) | instskip(SKIP_4) | instid1(VALU_DEP_4)
	v_fma_f64 v[48:49], v[48:49], s[14:15], v[87:88]
	v_add_f64_e32 v[87:88], v[52:53], v[67:68]
	v_fma_f64 v[46:47], v[50:51], s[14:15], v[46:47]
	v_fma_f64 v[50:51], v[50:51], s[14:15], v[89:90]
	v_add_f64_e32 v[89:90], v[54:55], v[69:70]
	v_fma_f64 v[87:88], v[87:88], -0.5, v[36:37]
	v_add_f64_e32 v[36:37], v[36:37], v[52:53]
	v_add_f64_e64 v[52:53], v[56:57], -v[52:53]
	s_delay_alu instid0(VALU_DEP_4) | instskip(SKIP_4) | instid1(VALU_DEP_4)
	v_fma_f64 v[89:90], v[89:90], -0.5, v[38:39]
	v_add_f64_e32 v[38:39], v[38:39], v[54:55]
	v_add_f64_e64 v[54:55], v[58:59], -v[54:55]
	v_add_f64_e32 v[36:37], v[36:37], v[56:57]
	v_add_f64_e64 v[56:57], v[60:61], -v[67:68]
	;; [unrolled: 2-line block ×3, first 2 shown]
	s_delay_alu instid0(VALU_DEP_4)
	v_add_f64_e32 v[36:37], v[36:37], v[60:61]
	v_fma_f64 v[60:61], v[93:94], s[12:13], v[87:88]
	v_add_f64_e32 v[56:57], v[52:53], v[56:57]
	v_add_f64_e32 v[38:39], v[38:39], v[62:63]
	v_fma_f64 v[62:63], v[93:94], s[8:9], v[87:88]
	v_add_f64_e32 v[36:37], v[36:37], v[67:68]
	v_fma_f64 v[67:68], v[113:114], s[8:9], v[89:90]
	;; [unrolled: 2-line block ×3, first 2 shown]
	v_add_f64_e64 v[93:94], v[77:78], -v[81:82]
	v_add_f64_e32 v[38:39], v[38:39], v[69:70]
	v_fma_f64 v[69:70], v[113:114], s[12:13], v[89:90]
	v_fma_f64 v[60:61], v[91:92], s[2:3], v[62:63]
	v_fma_f64 v[54:55], v[111:112], s[2:3], v[67:68]
	v_add_f64_e64 v[91:92], v[73:74], -v[85:86]
	v_fma_f64 v[52:53], v[56:57], s[14:15], v[52:53]
	v_add_f64_e64 v[113:114], v[75:76], -v[79:80]
	v_fma_f64 v[62:63], v[111:112], s[0:1], v[69:70]
	v_fma_f64 v[56:57], v[56:57], s[14:15], v[60:61]
	;; [unrolled: 1-line block ×3, first 2 shown]
	v_add_f64_e64 v[60:61], v[71:72], -v[75:76]
	v_add_f64_e64 v[111:112], v[71:72], -v[83:84]
	v_fma_f64 v[58:59], v[58:59], s[14:15], v[62:63]
	v_add_f64_e64 v[62:63], v[83:84], -v[79:80]
	s_delay_alu instid0(VALU_DEP_1) | instskip(SKIP_2) | instid1(VALU_DEP_1)
	v_add_f64_e32 v[67:68], v[60:61], v[62:63]
	v_add_f64_e64 v[60:61], v[73:74], -v[77:78]
	v_add_f64_e64 v[62:63], v[85:86], -v[81:82]
	v_add_f64_e32 v[69:70], v[60:61], v[62:63]
	v_add_f64_e32 v[60:61], v[75:76], v[79:80]
	s_wait_dscnt 0x0
	s_delay_alu instid0(VALU_DEP_1) | instskip(SKIP_1) | instid1(VALU_DEP_1)
	v_fma_f64 v[87:88], v[60:61], -0.5, v[40:41]
	v_add_f64_e32 v[60:61], v[77:78], v[81:82]
	v_fma_f64 v[89:90], v[60:61], -0.5, v[42:43]
	s_delay_alu instid0(VALU_DEP_3) | instskip(SKIP_1) | instid1(VALU_DEP_3)
	v_fma_f64 v[60:61], v[91:92], s[8:9], v[87:88]
	v_fma_f64 v[87:88], v[91:92], s[12:13], v[87:88]
	;; [unrolled: 1-line block ×4, first 2 shown]
	s_delay_alu instid0(VALU_DEP_4) | instskip(NEXT) | instid1(VALU_DEP_4)
	v_fma_f64 v[60:61], v[93:94], s[0:1], v[60:61]
	v_fma_f64 v[87:88], v[93:94], s[2:3], v[87:88]
	s_delay_alu instid0(VALU_DEP_4) | instskip(NEXT) | instid1(VALU_DEP_4)
	v_fma_f64 v[62:63], v[113:114], s[2:3], v[62:63]
	v_fma_f64 v[89:90], v[113:114], s[0:1], v[89:90]
	;; [unrolled: 3-line block ×3, first 2 shown]
	v_add_f64_e32 v[87:88], v[71:72], v[83:84]
	v_fma_f64 v[62:63], v[69:70], s[14:15], v[62:63]
	v_fma_f64 v[69:70], v[69:70], s[14:15], v[89:90]
	v_add_f64_e32 v[89:90], v[73:74], v[85:86]
	s_delay_alu instid0(VALU_DEP_4) | instskip(SKIP_2) | instid1(VALU_DEP_4)
	v_fma_f64 v[87:88], v[87:88], -0.5, v[40:41]
	v_add_f64_e32 v[40:41], v[40:41], v[71:72]
	v_add_f64_e64 v[71:72], v[75:76], -v[71:72]
	v_fma_f64 v[89:90], v[89:90], -0.5, v[42:43]
	v_add_f64_e32 v[42:43], v[42:43], v[73:74]
	v_add_f64_e64 v[73:74], v[77:78], -v[73:74]
	v_add_f64_e32 v[40:41], v[40:41], v[75:76]
	v_add_f64_e64 v[75:76], v[79:80], -v[83:84]
	s_delay_alu instid0(VALU_DEP_4) | instskip(SKIP_1) | instid1(VALU_DEP_4)
	v_add_f64_e32 v[42:43], v[42:43], v[77:78]
	v_add_f64_e64 v[77:78], v[81:82], -v[85:86]
	v_add_f64_e32 v[40:41], v[40:41], v[79:80]
	v_fma_f64 v[79:80], v[93:94], s[12:13], v[87:88]
	v_add_f64_e32 v[75:76], v[71:72], v[75:76]
	v_add_f64_e32 v[42:43], v[42:43], v[81:82]
	v_fma_f64 v[81:82], v[93:94], s[8:9], v[87:88]
	v_add_f64_e32 v[40:41], v[40:41], v[83:84]
	v_fma_f64 v[83:84], v[113:114], s[8:9], v[89:90]
	;; [unrolled: 2-line block ×3, first 2 shown]
	v_add_f64_e32 v[87:88], v[95:96], v[107:108]
	v_add_f64_e32 v[42:43], v[42:43], v[85:86]
	v_fma_f64 v[85:86], v[113:114], s[12:13], v[89:90]
	v_fma_f64 v[79:80], v[91:92], s[2:3], v[81:82]
	;; [unrolled: 1-line block ×4, first 2 shown]
	s_delay_alu instid0(VALU_DEP_4) | instskip(NEXT) | instid1(VALU_DEP_4)
	v_fma_f64 v[81:82], v[111:112], s[0:1], v[85:86]
	v_fma_f64 v[75:76], v[75:76], s[14:15], v[79:80]
	s_delay_alu instid0(VALU_DEP_4) | instskip(SKIP_1) | instid1(VALU_DEP_4)
	v_fma_f64 v[73:74], v[77:78], s[14:15], v[73:74]
	v_add_f64_e64 v[79:80], v[99:100], -v[95:96]
	v_fma_f64 v[77:78], v[77:78], s[14:15], v[81:82]
	v_add_f64_e64 v[81:82], v[103:104], -v[107:108]
	s_delay_alu instid0(VALU_DEP_1) | instskip(SKIP_2) | instid1(VALU_DEP_1)
	v_add_f64_e32 v[91:92], v[79:80], v[81:82]
	v_add_f64_e64 v[79:80], v[101:102], -v[97:98]
	v_add_f64_e64 v[81:82], v[105:106], -v[109:110]
	v_add_f64_e32 v[93:94], v[79:80], v[81:82]
	ds_load_b128 v[79:82], v221 offset:544
	ds_load_b128 v[83:86], v221 offset:816
	global_wb scope:SCOPE_SE
	s_wait_dscnt 0x0
	s_barrier_signal -1
	s_barrier_wait -1
	global_inv scope:SCOPE_SE
	ds_store_b128 v221, v[36:39]
	ds_store_b128 v221, v[44:47] offset:272
	ds_store_b128 v221, v[52:55] offset:544
	;; [unrolled: 1-line block ×9, first 2 shown]
	scratch_load_b32 v40, off, off offset:920 th:TH_LOAD_LU ; 4-byte Folded Reload
	v_add_f64_e64 v[42:43], v[28:29], -v[32:33]
	v_add_f64_e64 v[58:59], v[22:23], -v[34:35]
	;; [unrolled: 1-line block ×5, first 2 shown]
	v_fma_f64 v[111:112], v[87:88], -0.5, v[79:80]
	v_add_f64_e32 v[87:88], v[97:98], v[109:110]
	v_add_f64_e32 v[36:37], v[83:84], v[20:21]
	v_add_f64_e32 v[38:39], v[85:86], v[22:23]
	s_delay_alu instid0(VALU_DEP_3)
	v_fma_f64 v[113:114], v[87:88], -0.5, v[81:82]
	v_fma_f64 v[87:88], v[115:116], s[12:13], v[111:112]
	v_fma_f64 v[111:112], v[115:116], s[8:9], v[111:112]
	v_add_f64_e32 v[36:37], v[36:37], v[24:25]
	v_add_f64_e32 v[38:39], v[38:39], v[26:27]
	v_fma_f64 v[89:90], v[119:120], s[8:9], v[113:114]
	v_fma_f64 v[113:114], v[119:120], s[12:13], v[113:114]
	;; [unrolled: 1-line block ×4, first 2 shown]
	v_add_f64_e32 v[36:37], v[36:37], v[28:29]
	v_add_f64_e32 v[38:39], v[38:39], v[30:31]
	v_fma_f64 v[89:90], v[121:122], s[2:3], v[89:90]
	v_fma_f64 v[113:114], v[121:122], s[0:1], v[113:114]
	;; [unrolled: 1-line block ×4, first 2 shown]
	v_add_f64_e32 v[111:112], v[99:100], v[103:104]
	v_add_f64_e32 v[36:37], v[36:37], v[32:33]
	;; [unrolled: 1-line block ×3, first 2 shown]
	v_fma_f64 v[89:90], v[93:94], s[14:15], v[89:90]
	v_fma_f64 v[93:94], v[93:94], s[14:15], v[113:114]
	v_add_f64_e32 v[113:114], v[101:102], v[105:106]
	v_fma_f64 v[111:112], v[111:112], -0.5, v[79:80]
	v_add_f64_e32 v[79:80], v[79:80], v[95:96]
	v_add_f64_e64 v[95:96], v[95:96], -v[99:100]
	s_delay_alu instid0(VALU_DEP_4) | instskip(SKIP_4) | instid1(VALU_DEP_4)
	v_fma_f64 v[113:114], v[113:114], -0.5, v[81:82]
	v_add_f64_e32 v[81:82], v[81:82], v[97:98]
	v_add_f64_e64 v[97:98], v[97:98], -v[101:102]
	v_add_f64_e32 v[79:80], v[79:80], v[99:100]
	v_add_f64_e64 v[99:100], v[107:108], -v[103:104]
	;; [unrolled: 2-line block ×3, first 2 shown]
	s_delay_alu instid0(VALU_DEP_4)
	v_add_f64_e32 v[79:80], v[79:80], v[103:104]
	v_fma_f64 v[103:104], v[117:118], s[8:9], v[111:112]
	v_add_f64_e32 v[99:100], v[95:96], v[99:100]
	v_add_f64_e32 v[81:82], v[81:82], v[105:106]
	v_fma_f64 v[105:106], v[117:118], s[12:13], v[111:112]
	v_add_f64_e32 v[79:80], v[79:80], v[107:108]
	v_fma_f64 v[107:108], v[121:122], s[12:13], v[113:114]
	v_add_f64_e32 v[101:102], v[97:98], v[101:102]
	v_fma_f64 v[95:96], v[115:116], s[0:1], v[103:104]
	v_add_f64_e32 v[81:82], v[81:82], v[109:110]
	v_fma_f64 v[109:110], v[121:122], s[8:9], v[113:114]
	v_fma_f64 v[103:104], v[115:116], s[2:3], v[105:106]
	v_fma_f64 v[97:98], v[119:120], s[2:3], v[107:108]
	;; [unrolled: 1-line block ×3, first 2 shown]
	s_delay_alu instid0(VALU_DEP_4) | instskip(NEXT) | instid1(VALU_DEP_4)
	v_fma_f64 v[105:106], v[119:120], s[0:1], v[109:110]
	v_fma_f64 v[99:100], v[99:100], s[14:15], v[103:104]
	s_delay_alu instid0(VALU_DEP_4)
	v_fma_f64 v[97:98], v[101:102], s[14:15], v[97:98]
	s_wait_loadcnt 0x0
	ds_store_b128 v40, v[79:82] offset:2720
	ds_store_b128 v40, v[95:98] offset:2992
	;; [unrolled: 1-line block ×4, first 2 shown]
	v_fma_f64 v[101:102], v[101:102], s[14:15], v[105:106]
	ds_store_b128 v40, v[99:102] offset:3808
	v_add_f64_e32 v[40:41], v[20:21], v[32:33]
	s_delay_alu instid0(VALU_DEP_1) | instskip(SKIP_1) | instid1(VALU_DEP_1)
	v_fma_f64 v[44:45], v[40:41], -0.5, v[83:84]
	v_add_f64_e32 v[40:41], v[22:23], v[34:35]
	v_fma_f64 v[46:47], v[40:41], -0.5, v[85:86]
	v_add_f64_e32 v[40:41], v[24:25], v[28:29]
	s_delay_alu instid0(VALU_DEP_1) | instskip(SKIP_1) | instid1(VALU_DEP_1)
	v_fma_f64 v[48:49], v[40:41], -0.5, v[83:84]
	v_add_f64_e32 v[40:41], v[26:27], v[30:31]
	v_fma_f64 v[50:51], v[40:41], -0.5, v[85:86]
	v_add_f64_e64 v[40:41], v[24:25], -v[20:21]
	v_add_f64_e64 v[20:21], v[20:21], -v[24:25]
	;; [unrolled: 1-line block ×3, first 2 shown]
	v_fma_f64 v[28:29], v[58:59], s[8:9], v[48:49]
	v_fma_f64 v[32:33], v[62:63], s[12:13], v[50:51]
	v_add_f64_e32 v[52:53], v[40:41], v[42:43]
	v_add_f64_e64 v[40:41], v[26:27], -v[22:23]
	v_add_f64_e64 v[42:43], v[30:31], -v[34:35]
	;; [unrolled: 1-line block ×4, first 2 shown]
	v_fma_f64 v[30:31], v[58:59], s[12:13], v[48:49]
	v_add_f64_e32 v[24:25], v[20:21], v[24:25]
	v_fma_f64 v[20:21], v[56:57], s[0:1], v[28:29]
	v_fma_f64 v[34:35], v[62:63], s[8:9], v[50:51]
	v_add_f64_e32 v[54:55], v[40:41], v[42:43]
	v_fma_f64 v[40:41], v[56:57], s[12:13], v[44:45]
	v_fma_f64 v[42:43], v[60:61], s[8:9], v[46:47]
	;; [unrolled: 1-line block ×6, first 2 shown]
	v_add_f64_e32 v[26:27], v[22:23], v[26:27]
	v_fma_f64 v[22:23], v[60:61], s[2:3], v[32:33]
	v_fma_f64 v[30:31], v[60:61], s[0:1], v[34:35]
	v_add_f64_e64 v[32:33], v[0:1], -v[16:17]
	v_fma_f64 v[40:41], v[58:59], s[0:1], v[40:41]
	v_fma_f64 v[42:43], v[62:63], s[2:3], v[42:43]
	;; [unrolled: 1-line block ×3, first 2 shown]
	scratch_load_b32 v28, off, off offset:912 th:TH_LOAD_LU ; 4-byte Folded Reload
	v_fma_f64 v[44:45], v[58:59], s[2:3], v[44:45]
	v_fma_f64 v[46:47], v[62:63], s[0:1], v[46:47]
	;; [unrolled: 1-line block ×4, first 2 shown]
	v_add_f64_e64 v[30:31], v[2:3], -v[10:11]
	v_fma_f64 v[40:41], v[52:53], s[14:15], v[40:41]
	v_fma_f64 v[42:43], v[54:55], s[14:15], v[42:43]
	;; [unrolled: 1-line block ×4, first 2 shown]
	s_wait_loadcnt 0x0
	ds_store_b128 v28, v[36:39] offset:4080
	ds_store_b128 v28, v[20:23] offset:4352
	;; [unrolled: 1-line block ×5, first 2 shown]
	v_add_f64_e64 v[20:21], v[14:15], -v[8:9]
	v_add_f64_e64 v[22:23], v[12:13], -v[18:19]
	;; [unrolled: 1-line block ×4, first 2 shown]
	s_delay_alu instid0(VALU_DEP_3) | instskip(SKIP_2) | instid1(VALU_DEP_1)
	v_add_f64_e32 v[24:25], v[20:21], v[22:23]
	v_add_f64_e64 v[20:21], v[2:3], -v[0:1]
	v_add_f64_e64 v[22:23], v[10:11], -v[16:17]
	v_add_f64_e32 v[26:27], v[20:21], v[22:23]
	v_add_f64_e32 v[20:21], v[8:9], v[18:19]
	;; [unrolled: 1-line block ×3, first 2 shown]
	s_delay_alu instid0(VALU_DEP_2) | instskip(NEXT) | instid1(VALU_DEP_2)
	v_fma_f64 v[28:29], v[20:21], -0.5, v[4:5]
	v_fma_f64 v[34:35], v[22:23], -0.5, v[6:7]
	s_delay_alu instid0(VALU_DEP_2) | instskip(SKIP_1) | instid1(VALU_DEP_3)
	v_fma_f64 v[20:21], v[30:31], s[12:13], v[28:29]
	v_fma_f64 v[28:29], v[30:31], s[8:9], v[28:29]
	;; [unrolled: 1-line block ×4, first 2 shown]
	s_delay_alu instid0(VALU_DEP_4) | instskip(NEXT) | instid1(VALU_DEP_4)
	v_fma_f64 v[20:21], v[32:33], s[0:1], v[20:21]
	v_fma_f64 v[28:29], v[32:33], s[2:3], v[28:29]
	s_delay_alu instid0(VALU_DEP_4) | instskip(NEXT) | instid1(VALU_DEP_4)
	v_fma_f64 v[22:23], v[38:39], s[2:3], v[22:23]
	v_fma_f64 v[34:35], v[38:39], s[0:1], v[34:35]
	;; [unrolled: 3-line block ×3, first 2 shown]
	v_add_f64_e32 v[28:29], v[14:15], v[12:13]
	v_fma_f64 v[22:23], v[26:27], s[14:15], v[22:23]
	v_fma_f64 v[26:27], v[26:27], s[14:15], v[34:35]
	v_add_f64_e32 v[34:35], v[2:3], v[10:11]
	s_delay_alu instid0(VALU_DEP_4) | instskip(SKIP_2) | instid1(VALU_DEP_4)
	v_fma_f64 v[28:29], v[28:29], -0.5, v[4:5]
	v_add_f64_e32 v[4:5], v[4:5], v[8:9]
	v_add_f64_e64 v[8:9], v[8:9], -v[14:15]
	v_fma_f64 v[34:35], v[34:35], -0.5, v[6:7]
	v_add_f64_e32 v[6:7], v[6:7], v[0:1]
	v_add_f64_e64 v[0:1], v[0:1], -v[2:3]
	v_add_f64_e32 v[4:5], v[4:5], v[14:15]
	v_fma_f64 v[14:15], v[32:33], s[8:9], v[28:29]
	v_fma_f64 v[28:29], v[32:33], s[12:13], v[28:29]
	v_add_f64_e32 v[6:7], v[6:7], v[2:3]
	v_add_f64_e64 v[2:3], v[16:17], -v[10:11]
	v_add_f64_e32 v[4:5], v[4:5], v[12:13]
	v_add_f64_e64 v[12:13], v[18:19], -v[12:13]
	s_delay_alu instid0(VALU_DEP_4) | instskip(SKIP_1) | instid1(VALU_DEP_4)
	v_add_f64_e32 v[6:7], v[6:7], v[10:11]
	v_fma_f64 v[10:11], v[38:39], s[12:13], v[34:35]
	v_add_f64_e32 v[4:5], v[4:5], v[18:19]
	s_delay_alu instid0(VALU_DEP_4)
	v_add_f64_e32 v[8:9], v[8:9], v[12:13]
	v_fma_f64 v[12:13], v[30:31], s[0:1], v[14:15]
	v_add_f64_e32 v[18:19], v[0:1], v[2:3]
	v_add_f64_e32 v[6:7], v[6:7], v[16:17]
	v_fma_f64 v[16:17], v[38:39], s[8:9], v[34:35]
	v_fma_f64 v[2:3], v[36:37], s[2:3], v[10:11]
	;; [unrolled: 1-line block ×4, first 2 shown]
	scratch_load_b32 v12, off, off offset:728 th:TH_LOAD_LU ; 4-byte Folded Reload
	v_fma_f64 v[10:11], v[36:37], s[0:1], v[16:17]
	v_fma_f64 v[2:3], v[18:19], s[14:15], v[2:3]
	v_fma_f64 v[8:9], v[8:9], s[14:15], v[14:15]
	s_delay_alu instid0(VALU_DEP_3)
	v_fma_f64 v[10:11], v[18:19], s[14:15], v[10:11]
	s_wait_loadcnt 0x0
	ds_store_b128 v12, v[4:7] offset:5440
	ds_store_b128 v12, v[0:3] offset:5712
	;; [unrolled: 1-line block ×5, first 2 shown]
	global_wb scope:SCOPE_SE
	s_wait_dscnt 0x0
	s_barrier_signal -1
	s_barrier_wait -1
	global_inv scope:SCOPE_SE
	ds_load_b128 v[4:7], v221 offset:2720
	ds_load_b128 v[0:3], v221 offset:2992
	scratch_load_b128 v[10:13], off, off offset:632 th:TH_LOAD_LU ; 16-byte Folded Reload
	s_wait_loadcnt_dscnt 0x1
	v_mul_f64_e32 v[8:9], v[12:13], v[6:7]
	s_delay_alu instid0(VALU_DEP_1) | instskip(SKIP_1) | instid1(VALU_DEP_1)
	v_fma_f64 v[14:15], v[10:11], v[4:5], v[8:9]
	v_mul_f64_e32 v[4:5], v[12:13], v[4:5]
	v_fma_f64 v[12:13], v[10:11], v[6:7], -v[4:5]
	ds_load_b128 v[8:11], v221 offset:4080
	ds_load_b128 v[4:7], v221 offset:3808
	scratch_load_b128 v[20:23], off, off offset:616 th:TH_LOAD_LU ; 16-byte Folded Reload
	s_wait_loadcnt_dscnt 0x1
	v_mul_f64_e32 v[16:17], v[22:23], v[10:11]
	s_delay_alu instid0(VALU_DEP_1) | instskip(SKIP_1) | instid1(VALU_DEP_2)
	v_fma_f64 v[18:19], v[20:21], v[8:9], v[16:17]
	v_mul_f64_e32 v[8:9], v[22:23], v[8:9]
	v_add_f64_e64 v[113:114], v[14:15], -v[18:19]
	s_delay_alu instid0(VALU_DEP_2)
	v_fma_f64 v[16:17], v[20:21], v[10:11], -v[8:9]
	ds_load_b128 v[8:11], v221 offset:1360
	ds_load_b128 v[20:23], v221 offset:1088
	scratch_load_b128 v[26:29], off, off offset:472 th:TH_LOAD_LU ; 16-byte Folded Reload
	s_wait_loadcnt_dscnt 0x1
	v_mul_f64_e32 v[24:25], v[28:29], v[10:11]
	s_delay_alu instid0(VALU_DEP_1) | instskip(SKIP_1) | instid1(VALU_DEP_1)
	v_fma_f64 v[32:33], v[26:27], v[8:9], v[24:25]
	v_mul_f64_e32 v[8:9], v[28:29], v[8:9]
	v_fma_f64 v[34:35], v[26:27], v[10:11], -v[8:9]
	ds_load_b128 v[8:11], v221 offset:5440
	ds_load_b128 v[24:27], v221 offset:5712
	scratch_load_b128 v[38:41], off, off offset:536 th:TH_LOAD_LU ; 16-byte Folded Reload
	s_wait_loadcnt_dscnt 0x1
	v_mul_f64_e32 v[28:29], v[40:41], v[10:11]
	s_delay_alu instid0(VALU_DEP_1) | instskip(SKIP_1) | instid1(VALU_DEP_2)
	v_fma_f64 v[36:37], v[38:39], v[8:9], v[28:29]
	v_mul_f64_e32 v[8:9], v[40:41], v[8:9]
	v_add_f64_e64 v[111:112], v[32:33], -v[36:37]
	s_delay_alu instid0(VALU_DEP_2)
	v_fma_f64 v[38:39], v[38:39], v[10:11], -v[8:9]
	ds_load_b128 v[8:11], v221 offset:1632
	ds_load_b128 v[28:31], v221 offset:1904
	s_clause 0x1
	scratch_load_b128 v[42:45], off, off offset:680 th:TH_LOAD_LU
	scratch_load_b128 v[46:49], off, off offset:648 th:TH_LOAD_LU
	s_wait_loadcnt_dscnt 0x101
	v_mul_f64_e32 v[40:41], v[44:45], v[10:11]
	s_delay_alu instid0(VALU_DEP_1) | instskip(SKIP_1) | instid1(VALU_DEP_1)
	v_fma_f64 v[40:41], v[42:43], v[8:9], v[40:41]
	v_mul_f64_e32 v[8:9], v[44:45], v[8:9]
	v_fma_f64 v[42:43], v[42:43], v[10:11], -v[8:9]
	s_wait_loadcnt 0x0
	v_mul_f64_e32 v[8:9], v[48:49], v[2:3]
	s_delay_alu instid0(VALU_DEP_1) | instskip(SKIP_1) | instid1(VALU_DEP_1)
	v_fma_f64 v[44:45], v[46:47], v[0:1], v[8:9]
	v_mul_f64_e32 v[0:1], v[48:49], v[0:1]
	v_fma_f64 v[46:47], v[46:47], v[2:3], -v[0:1]
	ds_load_b128 v[0:3], v221 offset:4352
	ds_load_b128 v[8:11], v221 offset:4624
	s_clause 0x1
	scratch_load_b128 v[50:53], off, off offset:696 th:TH_LOAD_LU
	scratch_load_b128 v[54:57], off, off offset:664 th:TH_LOAD_LU
	s_wait_loadcnt_dscnt 0x101
	v_mul_f64_e32 v[48:49], v[52:53], v[2:3]
	s_delay_alu instid0(VALU_DEP_1) | instskip(SKIP_1) | instid1(VALU_DEP_1)
	v_fma_f64 v[48:49], v[50:51], v[0:1], v[48:49]
	v_mul_f64_e32 v[0:1], v[52:53], v[0:1]
	v_fma_f64 v[50:51], v[50:51], v[2:3], -v[0:1]
	s_wait_loadcnt 0x0
	v_mul_f64_e32 v[0:1], v[56:57], v[26:27]
	s_delay_alu instid0(VALU_DEP_1) | instskip(SKIP_1) | instid1(VALU_DEP_1)
	v_fma_f64 v[52:53], v[54:55], v[24:25], v[0:1]
	v_mul_f64_e32 v[0:1], v[56:57], v[24:25]
	v_fma_f64 v[54:55], v[54:55], v[26:27], -v[0:1]
	scratch_load_b128 v[24:27], off, off offset:752 th:TH_LOAD_LU ; 16-byte Folded Reload
	s_wait_loadcnt 0x0
	v_mul_f64_e32 v[0:1], v[26:27], v[30:31]
	s_delay_alu instid0(VALU_DEP_1) | instskip(SKIP_1) | instid1(VALU_DEP_1)
	v_fma_f64 v[60:61], v[24:25], v[28:29], v[0:1]
	v_mul_f64_e32 v[0:1], v[26:27], v[28:29]
	v_fma_f64 v[62:63], v[24:25], v[30:31], -v[0:1]
	ds_load_b128 v[0:3], v221 offset:3264
	ds_load_b128 v[24:27], v221 offset:3536
	scratch_load_b128 v[56:59], off, off offset:712 th:TH_LOAD_LU ; 16-byte Folded Reload
	s_wait_loadcnt_dscnt 0x1
	v_mul_f64_e32 v[28:29], v[58:59], v[2:3]
	s_delay_alu instid0(VALU_DEP_1) | instskip(SKIP_2) | instid1(VALU_DEP_1)
	v_fma_f64 v[67:68], v[56:57], v[0:1], v[28:29]
	scratch_load_b128 v[28:31], off, off offset:784 th:TH_LOAD_LU ; 16-byte Folded Reload
	v_mul_f64_e32 v[0:1], v[58:59], v[0:1]
	v_fma_f64 v[69:70], v[56:57], v[2:3], -v[0:1]
	s_wait_loadcnt 0x0
	v_mul_f64_e32 v[0:1], v[30:31], v[10:11]
	s_delay_alu instid0(VALU_DEP_1) | instskip(SKIP_1) | instid1(VALU_DEP_2)
	v_fma_f64 v[71:72], v[28:29], v[8:9], v[0:1]
	v_mul_f64_e32 v[0:1], v[30:31], v[8:9]
	v_add_f64_e64 v[119:120], v[67:68], -v[71:72]
	s_delay_alu instid0(VALU_DEP_2)
	v_fma_f64 v[73:74], v[28:29], v[10:11], -v[0:1]
	ds_load_b128 v[0:3], v221 offset:5984
	ds_load_b128 v[8:11], v221 offset:6256
	scratch_load_b128 v[56:59], off, off offset:736 th:TH_LOAD_LU ; 16-byte Folded Reload
	v_add_f64_e64 v[115:116], v[69:70], -v[73:74]
	s_wait_loadcnt_dscnt 0x1
	v_mul_f64_e32 v[28:29], v[58:59], v[2:3]
	s_delay_alu instid0(VALU_DEP_1) | instskip(SKIP_1) | instid1(VALU_DEP_2)
	v_fma_f64 v[75:76], v[56:57], v[0:1], v[28:29]
	v_mul_f64_e32 v[0:1], v[58:59], v[0:1]
	v_add_f64_e64 v[121:122], v[60:61], -v[75:76]
	s_delay_alu instid0(VALU_DEP_2)
	v_fma_f64 v[77:78], v[56:57], v[2:3], -v[0:1]
	ds_load_b128 v[0:3], v221 offset:2176
	ds_load_b128 v[28:31], v221 offset:2448
	scratch_load_b128 v[81:84], off, off offset:816 th:TH_LOAD_LU ; 16-byte Folded Reload
	v_add_f64_e64 v[117:118], v[62:63], -v[77:78]
	s_wait_loadcnt_dscnt 0x1
	v_mul_f64_e32 v[56:57], v[83:84], v[2:3]
	s_delay_alu instid0(VALU_DEP_1) | instskip(SKIP_2) | instid1(VALU_DEP_1)
	v_fma_f64 v[79:80], v[81:82], v[0:1], v[56:57]
	scratch_load_b128 v[56:59], off, off offset:768 th:TH_LOAD_LU ; 16-byte Folded Reload
	v_mul_f64_e32 v[0:1], v[83:84], v[0:1]
	v_fma_f64 v[81:82], v[81:82], v[2:3], -v[0:1]
	s_wait_loadcnt 0x0
	v_mul_f64_e32 v[0:1], v[58:59], v[26:27]
	s_delay_alu instid0(VALU_DEP_1) | instskip(SKIP_1) | instid1(VALU_DEP_1)
	v_fma_f64 v[83:84], v[56:57], v[24:25], v[0:1]
	v_mul_f64_e32 v[0:1], v[58:59], v[24:25]
	v_fma_f64 v[85:86], v[56:57], v[26:27], -v[0:1]
	ds_load_b128 v[0:3], v221 offset:4896
	ds_load_b128 v[24:27], v221 offset:5168
	scratch_load_b128 v[89:92], off, off offset:832 th:TH_LOAD_LU ; 16-byte Folded Reload
	s_wait_loadcnt_dscnt 0x1
	v_mul_f64_e32 v[56:57], v[91:92], v[2:3]
	s_delay_alu instid0(VALU_DEP_1) | instskip(SKIP_2) | instid1(VALU_DEP_1)
	v_fma_f64 v[87:88], v[89:90], v[0:1], v[56:57]
	scratch_load_b128 v[56:59], off, off offset:800 th:TH_LOAD_LU ; 16-byte Folded Reload
	v_mul_f64_e32 v[0:1], v[91:92], v[0:1]
	v_fma_f64 v[89:90], v[89:90], v[2:3], -v[0:1]
	s_wait_loadcnt 0x0
	v_mul_f64_e32 v[0:1], v[58:59], v[10:11]
	s_delay_alu instid0(VALU_DEP_1) | instskip(SKIP_2) | instid1(VALU_DEP_2)
	v_fma_f64 v[91:92], v[56:57], v[8:9], v[0:1]
	v_mul_f64_e32 v[0:1], v[58:59], v[8:9]
	v_add_f64_e64 v[58:59], v[12:13], -v[16:17]
	v_fma_f64 v[93:94], v[56:57], v[10:11], -v[0:1]
	scratch_load_b128 v[8:11], off, off offset:880 th:TH_LOAD_LU ; 16-byte Folded Reload
	v_add_f64_e64 v[56:57], v[34:35], -v[38:39]
	s_wait_loadcnt 0x0
	v_mul_f64_e32 v[0:1], v[10:11], v[30:31]
	s_delay_alu instid0(VALU_DEP_1) | instskip(SKIP_1) | instid1(VALU_DEP_1)
	v_fma_f64 v[95:96], v[8:9], v[28:29], v[0:1]
	v_mul_f64_e32 v[0:1], v[10:11], v[28:29]
	v_fma_f64 v[97:98], v[8:9], v[30:31], -v[0:1]
	scratch_load_b128 v[8:11], off, off offset:848 th:TH_LOAD_LU ; 16-byte Folded Reload
	s_wait_loadcnt 0x0
	v_mul_f64_e32 v[0:1], v[10:11], v[6:7]
	s_delay_alu instid0(VALU_DEP_1)
	v_fma_f64 v[99:100], v[8:9], v[4:5], v[0:1]
	v_mul_f64_e32 v[0:1], v[10:11], v[4:5]
	scratch_load_b128 v[2:5], off, off offset:896 th:TH_LOAD_LU ; 16-byte Folded Reload
	v_fma_f64 v[101:102], v[8:9], v[6:7], -v[0:1]
	scratch_load_b128 v[6:9], off, off offset:864 th:TH_LOAD_LU ; 16-byte Folded Reload
	s_wait_loadcnt_dscnt 0x100
	v_mul_f64_e32 v[0:1], v[4:5], v[26:27]
	s_delay_alu instid0(VALU_DEP_1) | instskip(SKIP_1) | instid1(VALU_DEP_1)
	v_fma_f64 v[103:104], v[2:3], v[24:25], v[0:1]
	v_mul_f64_e32 v[0:1], v[4:5], v[24:25]
	v_fma_f64 v[105:106], v[2:3], v[26:27], -v[0:1]
	ds_load_b128 v[0:3], v221 offset:6528
	s_wait_loadcnt_dscnt 0x0
	v_mul_f64_e32 v[4:5], v[8:9], v[2:3]
	s_delay_alu instid0(VALU_DEP_1) | instskip(SKIP_2) | instid1(VALU_DEP_2)
	v_fma_f64 v[107:108], v[6:7], v[0:1], v[4:5]
	v_mul_f64_e32 v[0:1], v[8:9], v[0:1]
	v_add_f64_e32 v[8:9], v[14:15], v[18:19]
	v_fma_f64 v[109:110], v[6:7], v[2:3], -v[0:1]
	v_add_f64_e64 v[0:1], v[32:33], -v[14:15]
	v_add_f64_e64 v[2:3], v[36:37], -v[18:19]
	s_delay_alu instid0(VALU_DEP_1) | instskip(SKIP_2) | instid1(VALU_DEP_1)
	v_add_f64_e32 v[24:25], v[0:1], v[2:3]
	v_add_f64_e64 v[0:1], v[34:35], -v[12:13]
	v_add_f64_e64 v[2:3], v[38:39], -v[16:17]
	v_add_f64_e32 v[26:27], v[0:1], v[2:3]
	ds_load_b128 v[0:3], v221
	ds_load_b128 v[4:7], v221 offset:272
	s_wait_dscnt 0x1
	v_fma_f64 v[28:29], v[8:9], -0.5, v[0:1]
	v_add_f64_e32 v[8:9], v[12:13], v[16:17]
	s_delay_alu instid0(VALU_DEP_1) | instskip(NEXT) | instid1(VALU_DEP_3)
	v_fma_f64 v[30:31], v[8:9], -0.5, v[2:3]
	v_fma_f64 v[8:9], v[56:57], s[8:9], v[28:29]
	v_fma_f64 v[28:29], v[56:57], s[12:13], v[28:29]
	s_delay_alu instid0(VALU_DEP_3) | instskip(SKIP_1) | instid1(VALU_DEP_4)
	v_fma_f64 v[10:11], v[111:112], s[12:13], v[30:31]
	v_fma_f64 v[30:31], v[111:112], s[8:9], v[30:31]
	;; [unrolled: 1-line block ×3, first 2 shown]
	s_delay_alu instid0(VALU_DEP_4) | instskip(NEXT) | instid1(VALU_DEP_4)
	v_fma_f64 v[28:29], v[58:59], s[2:3], v[28:29]
	v_fma_f64 v[10:11], v[113:114], s[2:3], v[10:11]
	s_delay_alu instid0(VALU_DEP_4) | instskip(NEXT) | instid1(VALU_DEP_4)
	v_fma_f64 v[30:31], v[113:114], s[0:1], v[30:31]
	v_fma_f64 v[8:9], v[24:25], s[14:15], v[8:9]
	s_delay_alu instid0(VALU_DEP_4) | instskip(SKIP_4) | instid1(VALU_DEP_4)
	v_fma_f64 v[24:25], v[24:25], s[14:15], v[28:29]
	v_add_f64_e32 v[28:29], v[32:33], v[36:37]
	v_fma_f64 v[10:11], v[26:27], s[14:15], v[10:11]
	v_fma_f64 v[26:27], v[26:27], s[14:15], v[30:31]
	v_add_f64_e32 v[30:31], v[34:35], v[38:39]
	v_fma_f64 v[28:29], v[28:29], -0.5, v[0:1]
	v_add_f64_e32 v[0:1], v[0:1], v[32:33]
	s_delay_alu instid0(VALU_DEP_3) | instskip(SKIP_1) | instid1(VALU_DEP_3)
	v_fma_f64 v[30:31], v[30:31], -0.5, v[2:3]
	v_add_f64_e32 v[2:3], v[2:3], v[34:35]
	v_add_f64_e32 v[0:1], v[0:1], v[14:15]
	v_add_f64_e64 v[14:15], v[14:15], -v[32:33]
	v_fma_f64 v[32:33], v[58:59], s[12:13], v[28:29]
	v_fma_f64 v[28:29], v[58:59], s[8:9], v[28:29]
	v_add_f64_e64 v[58:59], v[46:47], -v[50:51]
	v_add_f64_e32 v[2:3], v[2:3], v[12:13]
	v_add_f64_e64 v[12:13], v[12:13], -v[34:35]
	v_add_f64_e32 v[0:1], v[0:1], v[18:19]
	v_add_f64_e64 v[18:19], v[18:19], -v[36:37]
	v_fma_f64 v[34:35], v[113:114], s[8:9], v[30:31]
	v_fma_f64 v[30:31], v[113:114], s[12:13], v[30:31]
	;; [unrolled: 1-line block ×3, first 2 shown]
	v_add_f64_e64 v[113:114], v[44:45], -v[48:49]
	v_add_f64_e32 v[2:3], v[2:3], v[16:17]
	v_add_f64_e64 v[16:17], v[16:17], -v[38:39]
	v_add_f64_e32 v[0:1], v[0:1], v[36:37]
	v_add_f64_e32 v[18:19], v[14:15], v[18:19]
	v_fma_f64 v[14:15], v[56:57], s[0:1], v[32:33]
	v_fma_f64 v[30:31], v[111:112], s[0:1], v[30:31]
	v_add_f64_e64 v[56:57], v[42:43], -v[54:55]
	v_add_f64_e32 v[2:3], v[2:3], v[38:39]
	v_add_f64_e32 v[32:33], v[12:13], v[16:17]
	v_fma_f64 v[16:17], v[111:112], s[2:3], v[34:35]
	v_add_f64_e64 v[111:112], v[40:41], -v[52:53]
	v_fma_f64 v[12:13], v[18:19], s[14:15], v[14:15]
	s_delay_alu instid0(VALU_DEP_3) | instskip(SKIP_4) | instid1(VALU_DEP_1)
	v_fma_f64 v[14:15], v[32:33], s[14:15], v[16:17]
	v_fma_f64 v[16:17], v[18:19], s[14:15], v[28:29]
	v_fma_f64 v[18:19], v[32:33], s[14:15], v[30:31]
	v_add_f64_e64 v[28:29], v[40:41], -v[44:45]
	v_add_f64_e64 v[30:31], v[52:53], -v[48:49]
	v_add_f64_e32 v[32:33], v[28:29], v[30:31]
	v_add_f64_e64 v[28:29], v[42:43], -v[46:47]
	v_add_f64_e64 v[30:31], v[54:55], -v[50:51]
	s_delay_alu instid0(VALU_DEP_1) | instskip(SKIP_2) | instid1(VALU_DEP_1)
	v_add_f64_e32 v[34:35], v[28:29], v[30:31]
	v_add_f64_e32 v[28:29], v[44:45], v[48:49]
	s_wait_dscnt 0x0
	v_fma_f64 v[36:37], v[28:29], -0.5, v[4:5]
	v_add_f64_e32 v[28:29], v[46:47], v[50:51]
	s_delay_alu instid0(VALU_DEP_1) | instskip(NEXT) | instid1(VALU_DEP_3)
	v_fma_f64 v[38:39], v[28:29], -0.5, v[6:7]
	v_fma_f64 v[28:29], v[56:57], s[8:9], v[36:37]
	v_fma_f64 v[36:37], v[56:57], s[12:13], v[36:37]
	s_delay_alu instid0(VALU_DEP_3) | instskip(SKIP_1) | instid1(VALU_DEP_4)
	v_fma_f64 v[30:31], v[111:112], s[12:13], v[38:39]
	v_fma_f64 v[38:39], v[111:112], s[8:9], v[38:39]
	;; [unrolled: 1-line block ×3, first 2 shown]
	s_delay_alu instid0(VALU_DEP_4) | instskip(NEXT) | instid1(VALU_DEP_4)
	v_fma_f64 v[36:37], v[58:59], s[2:3], v[36:37]
	v_fma_f64 v[30:31], v[113:114], s[2:3], v[30:31]
	s_delay_alu instid0(VALU_DEP_4) | instskip(NEXT) | instid1(VALU_DEP_4)
	v_fma_f64 v[38:39], v[113:114], s[0:1], v[38:39]
	v_fma_f64 v[28:29], v[32:33], s[14:15], v[28:29]
	s_delay_alu instid0(VALU_DEP_4) | instskip(SKIP_4) | instid1(VALU_DEP_4)
	v_fma_f64 v[32:33], v[32:33], s[14:15], v[36:37]
	v_add_f64_e32 v[36:37], v[40:41], v[52:53]
	v_fma_f64 v[30:31], v[34:35], s[14:15], v[30:31]
	v_fma_f64 v[34:35], v[34:35], s[14:15], v[38:39]
	v_add_f64_e32 v[38:39], v[42:43], v[54:55]
	v_fma_f64 v[36:37], v[36:37], -0.5, v[4:5]
	v_add_f64_e32 v[4:5], v[4:5], v[40:41]
	v_add_f64_e64 v[40:41], v[44:45], -v[40:41]
	s_delay_alu instid0(VALU_DEP_4)
	v_fma_f64 v[38:39], v[38:39], -0.5, v[6:7]
	v_add_f64_e32 v[6:7], v[6:7], v[42:43]
	v_add_f64_e64 v[42:43], v[46:47], -v[42:43]
	v_add_f64_e32 v[4:5], v[4:5], v[44:45]
	v_fma_f64 v[44:45], v[58:59], s[12:13], v[36:37]
	v_fma_f64 v[36:37], v[58:59], s[8:9], v[36:37]
	v_add_f64_e32 v[6:7], v[6:7], v[46:47]
	v_add_f64_e64 v[46:47], v[48:49], -v[52:53]
	v_add_f64_e32 v[4:5], v[4:5], v[48:49]
	v_fma_f64 v[44:45], v[56:57], s[0:1], v[44:45]
	v_add_f64_e64 v[48:49], v[50:51], -v[54:55]
	v_add_f64_e32 v[6:7], v[6:7], v[50:51]
	v_add_f64_e32 v[40:41], v[40:41], v[46:47]
	v_fma_f64 v[46:47], v[56:57], s[2:3], v[36:37]
	v_fma_f64 v[50:51], v[113:114], s[8:9], v[38:39]
	;; [unrolled: 1-line block ×3, first 2 shown]
	v_add_f64_e32 v[42:43], v[42:43], v[48:49]
	v_add_f64_e32 v[4:5], v[4:5], v[52:53]
	;; [unrolled: 1-line block ×4, first 2 shown]
	v_fma_f64 v[36:37], v[40:41], s[14:15], v[44:45]
	v_fma_f64 v[40:41], v[40:41], s[14:15], v[46:47]
	v_add_f64_e64 v[44:45], v[67:68], -v[60:61]
	v_add_f64_e64 v[46:47], v[71:72], -v[75:76]
	v_fma_f64 v[48:49], v[111:112], s[2:3], v[50:51]
	v_fma_f64 v[50:51], v[111:112], s[0:1], v[38:39]
	s_delay_alu instid0(VALU_DEP_3) | instskip(SKIP_4) | instid1(VALU_DEP_3)
	v_add_f64_e32 v[56:57], v[44:45], v[46:47]
	v_add_f64_e64 v[44:45], v[69:70], -v[62:63]
	v_add_f64_e64 v[46:47], v[73:74], -v[77:78]
	v_fma_f64 v[38:39], v[42:43], s[14:15], v[48:49]
	v_fma_f64 v[42:43], v[42:43], s[14:15], v[50:51]
	v_add_f64_e32 v[58:59], v[44:45], v[46:47]
	ds_load_b128 v[44:47], v221 offset:544
	ds_load_b128 v[48:51], v221 offset:816
	ds_store_b128 v221, v[0:3]
	v_add_f64_e64 v[0:1], v[79:80], -v[83:84]
	v_add_f64_e64 v[2:3], v[91:92], -v[87:88]
	s_wait_dscnt 0x2
	v_fma_f64 v[111:112], v[52:53], -0.5, v[44:45]
	v_add_f64_e32 v[52:53], v[62:63], v[77:78]
	s_delay_alu instid0(VALU_DEP_1) | instskip(NEXT) | instid1(VALU_DEP_3)
	v_fma_f64 v[113:114], v[52:53], -0.5, v[46:47]
	v_fma_f64 v[52:53], v[115:116], s[12:13], v[111:112]
	v_fma_f64 v[111:112], v[115:116], s[8:9], v[111:112]
	s_delay_alu instid0(VALU_DEP_3) | instskip(NEXT) | instid1(VALU_DEP_3)
	v_fma_f64 v[54:55], v[119:120], s[8:9], v[113:114]
	v_fma_f64 v[52:53], v[117:118], s[0:1], v[52:53]
	;; [unrolled: 1-line block ×3, first 2 shown]
	s_delay_alu instid0(VALU_DEP_4) | instskip(NEXT) | instid1(VALU_DEP_4)
	v_fma_f64 v[111:112], v[117:118], s[2:3], v[111:112]
	v_fma_f64 v[54:55], v[121:122], s[2:3], v[54:55]
	s_delay_alu instid0(VALU_DEP_4) | instskip(NEXT) | instid1(VALU_DEP_4)
	v_fma_f64 v[52:53], v[56:57], s[14:15], v[52:53]
	v_fma_f64 v[113:114], v[121:122], s[0:1], v[113:114]
	s_delay_alu instid0(VALU_DEP_4) | instskip(SKIP_2) | instid1(VALU_DEP_4)
	v_fma_f64 v[56:57], v[56:57], s[14:15], v[111:112]
	v_add_f64_e32 v[111:112], v[67:68], v[71:72]
	v_fma_f64 v[54:55], v[58:59], s[14:15], v[54:55]
	v_fma_f64 v[58:59], v[58:59], s[14:15], v[113:114]
	v_add_f64_e32 v[113:114], v[69:70], v[73:74]
	s_delay_alu instid0(VALU_DEP_4) | instskip(SKIP_2) | instid1(VALU_DEP_4)
	v_fma_f64 v[111:112], v[111:112], -0.5, v[44:45]
	v_add_f64_e32 v[44:45], v[44:45], v[60:61]
	v_add_f64_e64 v[60:61], v[60:61], -v[67:68]
	v_fma_f64 v[113:114], v[113:114], -0.5, v[46:47]
	v_add_f64_e32 v[46:47], v[46:47], v[62:63]
	s_delay_alu instid0(VALU_DEP_4)
	v_add_f64_e32 v[44:45], v[44:45], v[67:68]
	v_fma_f64 v[67:68], v[117:118], s[8:9], v[111:112]
	v_fma_f64 v[111:112], v[117:118], s[12:13], v[111:112]
	v_add_f64_e64 v[62:63], v[62:63], -v[69:70]
	v_add_f64_e32 v[46:47], v[46:47], v[69:70]
	v_add_f64_e32 v[44:45], v[44:45], v[71:72]
	v_add_f64_e64 v[69:70], v[75:76], -v[71:72]
	v_add_f64_e64 v[71:72], v[77:78], -v[73:74]
	s_delay_alu instid0(VALU_DEP_4) | instskip(NEXT) | instid1(VALU_DEP_4)
	v_add_f64_e32 v[46:47], v[46:47], v[73:74]
	v_add_f64_e32 v[44:45], v[44:45], v[75:76]
	v_fma_f64 v[73:74], v[121:122], s[12:13], v[113:114]
	v_fma_f64 v[75:76], v[121:122], s[8:9], v[113:114]
	v_add_f64_e32 v[69:70], v[60:61], v[69:70]
	v_fma_f64 v[60:61], v[115:116], s[0:1], v[67:68]
	v_fma_f64 v[67:68], v[115:116], s[2:3], v[111:112]
	v_add_f64_e32 v[71:72], v[62:63], v[71:72]
	v_add_f64_e32 v[46:47], v[46:47], v[77:78]
	v_fma_f64 v[62:63], v[119:120], s[2:3], v[73:74]
	v_fma_f64 v[73:74], v[119:120], s[0:1], v[75:76]
	;; [unrolled: 1-line block ×4, first 2 shown]
	s_delay_alu instid0(VALU_DEP_4) | instskip(NEXT) | instid1(VALU_DEP_4)
	v_fma_f64 v[62:63], v[71:72], s[14:15], v[62:63]
	v_fma_f64 v[69:70], v[71:72], s[14:15], v[73:74]
	scratch_load_b32 v71, off, off offset:12 ; 4-byte Folded Reload
	s_wait_loadcnt 0x0
	ds_store_b128 v71, v[8:11] offset:1360
	ds_store_b128 v71, v[28:31] offset:1632
	;; [unrolled: 1-line block ×14, first 2 shown]
	v_add_f64_e32 v[4:5], v[0:1], v[2:3]
	v_add_f64_e64 v[0:1], v[81:82], -v[85:86]
	v_add_f64_e64 v[2:3], v[93:94], -v[89:90]
	;; [unrolled: 1-line block ×6, first 2 shown]
	s_wait_dscnt 0xf
	v_add_f64_e32 v[26:27], v[50:51], v[81:82]
	v_add_f64_e64 v[28:29], v[83:84], -v[79:80]
	v_add_f64_e64 v[34:35], v[87:88], -v[91:92]
	;; [unrolled: 1-line block ×6, first 2 shown]
	v_add_f64_e32 v[6:7], v[0:1], v[2:3]
	v_add_f64_e32 v[0:1], v[83:84], v[87:88]
	s_delay_alu instid0(VALU_DEP_1) | instskip(SKIP_1) | instid1(VALU_DEP_1)
	v_fma_f64 v[8:9], v[0:1], -0.5, v[48:49]
	v_add_f64_e32 v[0:1], v[85:86], v[89:90]
	v_fma_f64 v[10:11], v[0:1], -0.5, v[50:51]
	s_delay_alu instid0(VALU_DEP_3) | instskip(SKIP_1) | instid1(VALU_DEP_3)
	v_fma_f64 v[0:1], v[12:13], s[8:9], v[8:9]
	v_fma_f64 v[8:9], v[12:13], s[12:13], v[8:9]
	;; [unrolled: 1-line block ×4, first 2 shown]
	s_delay_alu instid0(VALU_DEP_4) | instskip(NEXT) | instid1(VALU_DEP_4)
	v_fma_f64 v[0:1], v[14:15], s[0:1], v[0:1]
	v_fma_f64 v[8:9], v[14:15], s[2:3], v[8:9]
	s_delay_alu instid0(VALU_DEP_4) | instskip(NEXT) | instid1(VALU_DEP_4)
	v_fma_f64 v[2:3], v[18:19], s[2:3], v[2:3]
	v_fma_f64 v[10:11], v[18:19], s[0:1], v[10:11]
	;; [unrolled: 3-line block ×3, first 2 shown]
	v_add_f64_e32 v[8:9], v[79:80], v[91:92]
	v_fma_f64 v[2:3], v[6:7], s[14:15], v[2:3]
	v_fma_f64 v[6:7], v[6:7], s[14:15], v[10:11]
	v_add_f64_e32 v[10:11], v[81:82], v[93:94]
	s_delay_alu instid0(VALU_DEP_4) | instskip(NEXT) | instid1(VALU_DEP_2)
	v_fma_f64 v[8:9], v[8:9], -0.5, v[48:49]
	v_fma_f64 v[24:25], v[10:11], -0.5, v[50:51]
	v_add_f64_e32 v[10:11], v[48:49], v[79:80]
	s_delay_alu instid0(VALU_DEP_3)
	v_fma_f64 v[30:31], v[14:15], s[12:13], v[8:9]
	v_fma_f64 v[14:15], v[14:15], s[8:9], v[8:9]
	v_add_f64_e32 v[8:9], v[26:27], v[85:86]
	v_add_f64_e64 v[26:27], v[85:86], -v[81:82]
	v_add_f64_e64 v[48:49], v[107:108], -v[103:104]
	;; [unrolled: 1-line block ×3, first 2 shown]
	v_fma_f64 v[36:37], v[18:19], s[8:9], v[24:25]
	v_add_f64_e32 v[10:11], v[10:11], v[83:84]
	v_fma_f64 v[18:19], v[18:19], s[12:13], v[24:25]
	v_add_f64_e32 v[24:25], v[28:29], v[34:35]
	v_add_f64_e32 v[32:33], v[8:9], v[89:90]
	v_fma_f64 v[28:29], v[12:13], s[0:1], v[30:31]
	v_fma_f64 v[30:31], v[12:13], s[2:3], v[14:15]
	;; [unrolled: 1-line block ×3, first 2 shown]
	v_add_f64_e32 v[10:11], v[10:11], v[87:88]
	v_fma_f64 v[18:19], v[16:17], s[0:1], v[18:19]
	v_add_f64_e64 v[36:37], v[101:102], -v[105:106]
	v_fma_f64 v[12:13], v[24:25], s[14:15], v[28:29]
	v_fma_f64 v[16:17], v[24:25], s[14:15], v[30:31]
	v_add_f64_e64 v[24:25], v[99:100], -v[95:96]
	v_add_f64_e32 v[8:9], v[10:11], v[91:92]
	v_add_f64_e32 v[10:11], v[32:33], v[93:94]
	v_add_f64_e64 v[32:33], v[89:90], -v[93:94]
	s_delay_alu instid0(VALU_DEP_1) | instskip(NEXT) | instid1(VALU_DEP_1)
	v_add_f64_e32 v[26:27], v[26:27], v[32:33]
	v_fma_f64 v[14:15], v[26:27], s[14:15], v[14:15]
	v_fma_f64 v[18:19], v[26:27], s[14:15], v[18:19]
	v_add_f64_e64 v[26:27], v[103:104], -v[107:108]
	s_delay_alu instid0(VALU_DEP_1) | instskip(SKIP_2) | instid1(VALU_DEP_1)
	v_add_f64_e32 v[28:29], v[24:25], v[26:27]
	v_add_f64_e64 v[24:25], v[101:102], -v[97:98]
	v_add_f64_e64 v[26:27], v[105:106], -v[109:110]
	v_add_f64_e32 v[30:31], v[24:25], v[26:27]
	v_add_f64_e32 v[24:25], v[95:96], v[107:108]
	s_delay_alu instid0(VALU_DEP_1) | instskip(SKIP_1) | instid1(VALU_DEP_1)
	v_fma_f64 v[32:33], v[24:25], -0.5, v[20:21]
	v_add_f64_e32 v[24:25], v[97:98], v[109:110]
	v_fma_f64 v[34:35], v[24:25], -0.5, v[22:23]
	s_delay_alu instid0(VALU_DEP_3) | instskip(SKIP_1) | instid1(VALU_DEP_3)
	v_fma_f64 v[24:25], v[36:37], s[12:13], v[32:33]
	v_fma_f64 v[32:33], v[36:37], s[8:9], v[32:33]
	;; [unrolled: 1-line block ×4, first 2 shown]
	s_delay_alu instid0(VALU_DEP_4) | instskip(NEXT) | instid1(VALU_DEP_4)
	v_fma_f64 v[24:25], v[38:39], s[0:1], v[24:25]
	v_fma_f64 v[32:33], v[38:39], s[2:3], v[32:33]
	s_delay_alu instid0(VALU_DEP_4) | instskip(NEXT) | instid1(VALU_DEP_4)
	v_fma_f64 v[26:27], v[42:43], s[2:3], v[26:27]
	v_fma_f64 v[34:35], v[42:43], s[0:1], v[34:35]
	;; [unrolled: 3-line block ×3, first 2 shown]
	v_add_f64_e32 v[32:33], v[99:100], v[103:104]
	v_fma_f64 v[26:27], v[30:31], s[14:15], v[26:27]
	v_fma_f64 v[30:31], v[30:31], s[14:15], v[34:35]
	v_add_f64_e32 v[34:35], v[101:102], v[105:106]
	s_delay_alu instid0(VALU_DEP_4) | instskip(SKIP_1) | instid1(VALU_DEP_3)
	v_fma_f64 v[32:33], v[32:33], -0.5, v[20:21]
	v_add_f64_e32 v[20:21], v[20:21], v[95:96]
	v_fma_f64 v[34:35], v[34:35], -0.5, v[22:23]
	v_add_f64_e32 v[22:23], v[22:23], v[97:98]
	s_delay_alu instid0(VALU_DEP_4) | instskip(NEXT) | instid1(VALU_DEP_4)
	v_fma_f64 v[46:47], v[38:39], s[8:9], v[32:33]
	v_add_f64_e32 v[20:21], v[20:21], v[99:100]
	v_fma_f64 v[32:33], v[38:39], s[12:13], v[32:33]
	v_add_f64_e64 v[38:39], v[97:98], -v[101:102]
	v_fma_f64 v[52:53], v[42:43], s[12:13], v[34:35]
	v_add_f64_e32 v[22:23], v[22:23], v[101:102]
	v_fma_f64 v[34:35], v[42:43], s[8:9], v[34:35]
	v_add_f64_e32 v[20:21], v[20:21], v[103:104]
	v_add_f64_e32 v[42:43], v[44:45], v[48:49]
	v_fma_f64 v[44:45], v[36:37], s[0:1], v[46:47]
	v_add_f64_e32 v[38:39], v[38:39], v[50:51]
	v_fma_f64 v[36:37], v[36:37], s[2:3], v[32:33]
	v_fma_f64 v[46:47], v[40:41], s[2:3], v[52:53]
	v_add_f64_e32 v[22:23], v[22:23], v[105:106]
	v_fma_f64 v[40:41], v[40:41], s[0:1], v[34:35]
	v_add_f64_e32 v[20:21], v[20:21], v[107:108]
	s_mov_b32 s2, 0xace01346
	v_fma_f64 v[32:33], v[42:43], s[14:15], v[44:45]
	s_mov_b32 s3, 0x3f634679
	v_fma_f64 v[36:37], v[42:43], s[14:15], v[36:37]
	v_fma_f64 v[34:35], v[38:39], s[14:15], v[46:47]
	v_add_f64_e32 v[22:23], v[22:23], v[109:110]
	v_fma_f64 v[38:39], v[38:39], s[14:15], v[40:41]
	ds_store_b128 v71, v[8:11] offset:816
	ds_store_b128 v65, v[0:3] offset:1360
	;; [unrolled: 1-line block ×10, first 2 shown]
	global_wb scope:SCOPE_SE
	s_wait_dscnt 0x0
	s_barrier_signal -1
	s_barrier_wait -1
	global_inv scope:SCOPE_SE
	ds_load_b128 v[0:3], v221
	ds_load_b128 v[4:7], v221 offset:400
	s_clause 0x1
	scratch_load_b128 v[22:25], off, off offset:376 th:TH_LOAD_LU
	scratch_load_b128 v[26:29], off, off offset:392 th:TH_LOAD_LU
	ds_load_b128 v[8:11], v221 offset:800
	ds_load_b128 v[12:15], v221 offset:1200
	s_clause 0x4
	scratch_load_b128 v[58:61], off, off offset:360 th:TH_LOAD_LU
	scratch_load_b128 v[66:69], off, off offset:240 th:TH_LOAD_LU
	;; [unrolled: 1-line block ×5, first 2 shown]
	s_wait_loadcnt_dscnt 0x603
	v_mul_f64_e32 v[16:17], v[24:25], v[2:3]
	s_wait_loadcnt_dscnt 0x502
	v_mul_f64_e32 v[20:21], v[28:29], v[6:7]
	v_mul_f64_e32 v[18:19], v[24:25], v[0:1]
	;; [unrolled: 1-line block ×3, first 2 shown]
	s_wait_loadcnt_dscnt 0x401
	v_mul_f64_e32 v[32:33], v[60:61], v[10:11]
	v_mul_f64_e32 v[34:35], v[60:61], v[8:9]
	s_clause 0x1
	scratch_load_b128 v[60:63], off, off offset:344 th:TH_LOAD_LU
	scratch_load_b32 v29, off, off th:TH_LOAD_LU
	v_fma_f64 v[0:1], v[22:23], v[0:1], v[16:17]
	v_fma_f64 v[36:37], v[26:27], v[4:5], v[20:21]
	scratch_load_b64 v[4:5], off, off offset:304 th:TH_LOAD_LU ; 8-byte Folded Reload
	v_fma_f64 v[2:3], v[22:23], v[2:3], -v[18:19]
	v_fma_f64 v[38:39], v[26:27], v[6:7], -v[24:25]
	ds_load_b128 v[16:19], v221 offset:1600
	ds_load_b128 v[20:23], v221 offset:2000
	v_fma_f64 v[56:57], v[58:59], v[8:9], v[32:33]
	v_fma_f64 v[58:59], v[58:59], v[10:11], -v[34:35]
	ds_load_b128 v[8:11], v221 offset:3200
	s_wait_alu 0xfffe
	v_mul_f64_e32 v[32:33], s[2:3], v[36:37]
	v_mul_f64_e32 v[26:27], s[2:3], v[2:3]
	;; [unrolled: 1-line block ×3, first 2 shown]
	ds_load_b128 v[36:39], v221 offset:4000
	s_wait_loadcnt_dscnt 0x204
	v_mul_f64_e32 v[42:43], v[62:63], v[14:15]
	v_mul_f64_e32 v[44:45], v[62:63], v[12:13]
	scratch_load_b128 v[62:65], off, off offset:328 th:TH_LOAD_LU ; 16-byte Folded Reload
	v_mov_b32_e32 v106, v71
	s_wait_loadcnt 0x2
	v_mad_co_u64_u32 v[50:51], null, s4, v29, 0
	s_wait_loadcnt 0x1
	s_delay_alu instid0(VALU_DEP_1) | instskip(NEXT) | instid1(VALU_DEP_1)
	v_dual_mov_b32 v28, v51 :: v_dual_mov_b32 v5, v4
	v_mad_co_u64_u32 v[40:41], null, s6, v5, 0
	s_delay_alu instid0(VALU_DEP_1) | instskip(NEXT) | instid1(VALU_DEP_1)
	v_mov_b32_e32 v4, v41
	v_mad_co_u64_u32 v[24:25], null, s7, v5, v[4:5]
	ds_load_b128 v[4:7], v221 offset:2400
	v_mov_b32_e32 v41, v24
	v_mul_f64_e32 v[24:25], s[2:3], v[0:1]
	v_mad_co_u64_u32 v[0:1], null, s5, v29, v[28:29]
	ds_load_b128 v[28:31], v221 offset:2800
	v_lshlrev_b64_e32 v[2:3], 4, v[40:41]
	v_fma_f64 v[40:41], v[60:61], v[12:13], v[42:43]
	v_fma_f64 v[42:43], v[60:61], v[14:15], -v[44:45]
	ds_load_b128 v[12:15], v221 offset:3600
	v_mov_b32_e32 v51, v0
	v_add_co_u32 v2, s0, s10, v2
	s_wait_alu 0xf1ff
	v_add_co_ci_u32_e64 v3, s0, s11, v3, s0
	s_wait_dscnt 0x2
	v_mul_f64_e32 v[0:1], v[78:79], v[6:7]
	v_mul_f64_e32 v[44:45], v[78:79], v[4:5]
	scratch_load_b128 v[78:81], off, off offset:192 th:TH_LOAD_LU ; 16-byte Folded Reload
	v_mul_f64_e32 v[52:53], v[68:69], v[22:23]
	v_mul_f64_e32 v[54:55], v[68:69], v[20:21]
	v_fma_f64 v[0:1], v[76:77], v[4:5], v[0:1]
	s_delay_alu instid0(VALU_DEP_3) | instskip(NEXT) | instid1(VALU_DEP_3)
	v_fma_f64 v[52:53], v[66:67], v[20:21], v[52:53]
	v_fma_f64 v[54:55], v[66:67], v[22:23], -v[54:55]
	v_mul_f64_e32 v[22:23], s[2:3], v[58:59]
	s_wait_loadcnt 0x1
	v_mul_f64_e32 v[46:47], v[64:65], v[18:19]
	v_mul_f64_e32 v[48:49], v[64:65], v[16:17]
	s_delay_alu instid0(VALU_DEP_2) | instskip(NEXT) | instid1(VALU_DEP_2)
	v_fma_f64 v[60:61], v[62:63], v[16:17], v[46:47]
	v_fma_f64 v[48:49], v[62:63], v[18:19], -v[48:49]
	v_lshlrev_b64_e32 v[16:17], 4, v[50:51]
	s_delay_alu instid0(VALU_DEP_1) | instskip(SKIP_1) | instid1(VALU_DEP_2)
	v_add_co_u32 v20, s0, v2, v16
	s_wait_alu 0xf1ff
	v_add_co_ci_u32_e64 v21, s0, v3, v17, s0
	ds_load_b128 v[16:19], v221 offset:4400
	s_mul_u64 s[0:1], s[4:5], 25
	s_wait_alu 0xfffe
	s_lshl_b64 s[6:7], s[0:1], 4
	global_store_b128 v[20:21], v[24:27], off
	s_wait_alu 0xfffe
	v_add_co_u32 v74, s0, v20, s6
	s_wait_alu 0xf1ff
	v_add_co_ci_u32_e64 v75, s0, s7, v21, s0
	v_mul_f64_e32 v[20:21], s[2:3], v[56:57]
	v_fma_f64 v[56:57], v[76:77], v[6:7], -v[44:45]
	ds_load_b128 v[24:27], v221 offset:4800
	ds_load_b128 v[4:7], v221 offset:5200
	global_store_b128 v[74:75], v[32:35], off
	v_mul_f64_e32 v[32:33], s[2:3], v[40:41]
	v_mul_f64_e32 v[34:35], s[2:3], v[42:43]
	ds_load_b128 v[40:43], v221 offset:5600
	v_add_co_u32 v74, s0, v74, s6
	s_wait_alu 0xf1ff
	v_add_co_ci_u32_e64 v75, s0, s7, v75, s0
	s_delay_alu instid0(VALU_DEP_2) | instskip(SKIP_1) | instid1(VALU_DEP_2)
	v_add_co_u32 v88, s0, v74, s6
	s_wait_alu 0xf1ff
	v_add_co_ci_u32_e64 v89, s0, s7, v75, s0
	s_wait_loadcnt_dscnt 0x5
	v_mul_f64_e32 v[46:47], v[80:81], v[30:31]
	v_mul_f64_e32 v[62:63], v[80:81], v[28:29]
	scratch_load_b128 v[80:83], off, off offset:208 th:TH_LOAD_LU ; 16-byte Folded Reload
	global_store_b128 v[74:75], v[20:23], off
	v_add_co_u32 v20, s0, v88, s6
	s_wait_alu 0xf1ff
	v_add_co_ci_u32_e64 v21, s0, s7, v89, s0
	s_delay_alu instid0(VALU_DEP_2) | instskip(SKIP_1) | instid1(VALU_DEP_2)
	v_add_co_u32 v22, s0, v20, s6
	s_wait_alu 0xf1ff
	v_add_co_ci_u32_e64 v23, s0, s7, v21, s0
	v_fma_f64 v[58:59], v[78:79], v[28:29], v[46:47]
	v_fma_f64 v[62:63], v[78:79], v[30:31], -v[62:63]
	ds_load_b128 v[28:31], v221 offset:6000
	ds_load_b128 v[44:47], v221 offset:6400
	s_wait_dscnt 0x2
	v_mul_f64_e32 v[78:79], v[102:103], v[40:41]
	s_wait_loadcnt 0x0
	v_mul_f64_e32 v[50:51], v[82:83], v[10:11]
	v_mul_f64_e32 v[64:65], v[82:83], v[8:9]
	scratch_load_b128 v[82:85], off, off offset:224 th:TH_LOAD_LU ; 16-byte Folded Reload
	v_fma_f64 v[76:77], v[80:81], v[8:9], v[50:51]
	v_fma_f64 v[64:65], v[80:81], v[10:11], -v[64:65]
	v_mul_f64_e32 v[10:11], s[2:3], v[48:49]
	v_mul_f64_e32 v[48:49], s[2:3], v[52:53]
	;; [unrolled: 1-line block ×5, first 2 shown]
	s_wait_loadcnt 0x0
	v_mul_f64_e32 v[66:67], v[84:85], v[14:15]
	v_mul_f64_e32 v[68:69], v[84:85], v[12:13]
	scratch_load_b128 v[84:87], off, off offset:256 th:TH_LOAD_LU ; 16-byte Folded Reload
	v_fma_f64 v[54:55], v[82:83], v[12:13], v[66:67]
	v_mul_f64_e32 v[12:13], v[92:93], v[16:17]
	scratch_load_b128 v[92:95], off, off offset:288 th:TH_LOAD_LU ; 16-byte Folded Reload
	v_fma_f64 v[60:61], v[82:83], v[14:15], -v[68:69]
	s_wait_loadcnt 0x1
	v_mul_f64_e32 v[70:71], v[86:87], v[38:39]
	v_mul_f64_e32 v[72:73], v[86:87], v[36:37]
	s_wait_loadcnt 0x0
	v_mul_f64_e32 v[14:15], v[94:95], v[26:27]
	v_mul_f64_e32 v[66:67], v[94:95], v[24:25]
	scratch_load_b128 v[94:97], off, off offset:312 th:TH_LOAD_LU ; 16-byte Folded Reload
	v_fma_f64 v[36:37], v[84:85], v[36:37], v[70:71]
	v_fma_f64 v[38:39], v[84:85], v[38:39], -v[72:73]
	v_mul_f64_e32 v[72:73], v[102:103], v[42:43]
	scratch_load_b128 v[102:105], off, off offset:440 th:TH_LOAD_LU ; 16-byte Folded Reload
	v_fma_f64 v[42:43], v[100:101], v[42:43], -v[78:79]
	v_fma_f64 v[40:41], v[100:101], v[40:41], v[72:73]
	s_wait_loadcnt 0x1
	v_mul_f64_e32 v[68:69], v[96:97], v[6:7]
	v_mul_f64_e32 v[70:71], v[96:97], v[4:5]
	scratch_load_b128 v[96:99], off, off offset:408 th:TH_LOAD_LU ; 16-byte Folded Reload
	s_clause 0x1
	global_store_b128 v[88:89], v[32:35], off
	global_store_b128 v[20:21], v[8:11], off
	;; [unrolled: 1-line block ×3, first 2 shown]
	s_wait_loadcnt_dscnt 0x100
	v_mul_f64_e32 v[84:85], v[104:105], v[46:47]
	v_mul_f64_e32 v[86:87], v[104:105], v[44:45]
	v_fma_f64 v[32:33], v[90:91], v[16:17], v[52:53]
	v_fma_f64 v[34:35], v[90:91], v[18:19], -v[12:13]
	v_fma_f64 v[48:49], v[92:93], v[24:25], v[14:15]
	v_fma_f64 v[50:51], v[92:93], v[26:27], -v[66:67]
	v_mul_f64_e32 v[8:9], s[2:3], v[58:59]
	v_mul_f64_e32 v[10:11], s[2:3], v[62:63]
	;; [unrolled: 1-line block ×8, first 2 shown]
	v_fma_f64 v[52:53], v[94:95], v[4:5], v[68:69]
	v_fma_f64 v[66:67], v[94:95], v[6:7], -v[70:71]
	v_mul_f64_e32 v[4:5], s[2:3], v[0:1]
	v_mul_f64_e32 v[6:7], s[2:3], v[56:57]
	v_fma_f64 v[44:45], v[102:103], v[44:45], v[84:85]
	v_fma_f64 v[46:47], v[102:103], v[46:47], -v[86:87]
	v_add_co_u32 v0, s0, v22, s6
	s_wait_alu 0xf1ff
	v_add_co_ci_u32_e64 v1, s0, s7, v23, s0
	v_mul_f64_e32 v[22:23], s[2:3], v[38:39]
	s_delay_alu instid0(VALU_DEP_3) | instskip(SKIP_1) | instid1(VALU_DEP_3)
	v_add_co_u32 v56, s0, v0, s6
	s_wait_alu 0xf1ff
	v_add_co_ci_u32_e64 v57, s0, s7, v1, s0
	v_mul_f64_e32 v[24:25], s[2:3], v[32:33]
	s_delay_alu instid0(VALU_DEP_3) | instskip(SKIP_1) | instid1(VALU_DEP_3)
	;; [unrolled: 5-line block ×3, first 2 shown]
	v_add_co_u32 v54, s0, v58, s6
	s_wait_alu 0xf1ff
	v_add_co_ci_u32_e64 v55, s0, s7, v59, s0
	v_mul_f64_e32 v[38:39], s[2:3], v[42:43]
	v_mul_f64_e32 v[32:33], s[2:3], v[52:53]
	v_mul_f64_e32 v[34:35], s[2:3], v[66:67]
	global_store_b128 v[0:1], v[4:7], off
	v_mul_f64_e32 v[44:45], s[2:3], v[44:45]
	v_mul_f64_e32 v[46:47], s[2:3], v[46:47]
	global_store_b128 v[56:57], v[8:11], off
	global_store_b128 v[58:59], v[12:15], off
	;; [unrolled: 1-line block ×3, first 2 shown]
	s_wait_loadcnt 0x0
	v_mul_f64_e32 v[80:81], v[98:99], v[30:31]
	v_mul_f64_e32 v[82:83], v[98:99], v[28:29]
	s_delay_alu instid0(VALU_DEP_2) | instskip(NEXT) | instid1(VALU_DEP_2)
	v_fma_f64 v[68:69], v[96:97], v[28:29], v[80:81]
	v_fma_f64 v[70:71], v[96:97], v[30:31], -v[82:83]
	v_mul_f64_e32 v[28:29], s[2:3], v[48:49]
	v_mul_f64_e32 v[30:31], s[2:3], v[50:51]
	v_add_co_u32 v48, s0, v54, s6
	s_wait_alu 0xf1ff
	v_add_co_ci_u32_e64 v49, s0, s7, v55, s0
	s_delay_alu instid0(VALU_DEP_2) | instskip(SKIP_1) | instid1(VALU_DEP_2)
	v_add_co_u32 v0, s0, v48, s6
	s_wait_alu 0xf1ff
	v_add_co_ci_u32_e64 v1, s0, s7, v49, s0
	global_store_b128 v[48:49], v[20:23], off
	v_add_co_u32 v4, s0, v0, s6
	s_wait_alu 0xf1ff
	v_add_co_ci_u32_e64 v5, s0, s7, v1, s0
	global_store_b128 v[0:1], v[24:27], off
	v_add_co_u32 v6, s0, v4, s6
	s_wait_alu 0xf1ff
	v_add_co_ci_u32_e64 v7, s0, s7, v5, s0
	s_delay_alu instid0(VALU_DEP_2) | instskip(SKIP_1) | instid1(VALU_DEP_2)
	v_add_co_u32 v8, s0, v6, s6
	s_wait_alu 0xf1ff
	v_add_co_ci_u32_e64 v9, s0, s7, v7, s0
	s_delay_alu instid0(VALU_DEP_2) | instskip(SKIP_1) | instid1(VALU_DEP_2)
	;; [unrolled: 4-line block ×3, first 2 shown]
	v_add_co_u32 v0, s0, v10, s6
	s_wait_alu 0xf1ff
	v_add_co_ci_u32_e64 v1, s0, s7, v11, s0
	v_mul_f64_e32 v[40:41], s[2:3], v[68:69]
	v_mul_f64_e32 v[42:43], s[2:3], v[70:71]
	global_store_b128 v[4:5], v[28:31], off
	global_store_b128 v[6:7], v[32:35], off
	;; [unrolled: 1-line block ×5, first 2 shown]
	s_and_b32 exec_lo, exec_lo, vcc_lo
	s_cbranch_execz .LBB0_15
; %bb.14:
	scratch_load_b64 v[18:19], off, off offset:4 th:TH_LOAD_LU ; 8-byte Folded Reload
	ds_load_b128 v[8:11], v106 offset:272
	v_mad_co_u64_u32 v[0:1], null, 0xffffe810, s4, v[0:1]
	s_mul_i32 s0, s5, 0xffffe810
	s_wait_alu 0xfffe
	s_sub_co_i32 s0, s0, s4
	s_wait_alu 0xfffe
	s_delay_alu instid0(VALU_DEP_1)
	v_add_nc_u32_e32 v1, s0, v1
	s_mul_i32 s0, s5, 0x320
	s_wait_loadcnt 0x0
	global_load_b128 v[4:7], v[18:19], off offset:272
	s_wait_loadcnt_dscnt 0x0
	v_mul_f64_e32 v[12:13], v[10:11], v[6:7]
	v_mul_f64_e32 v[6:7], v[8:9], v[6:7]
	s_delay_alu instid0(VALU_DEP_2) | instskip(NEXT) | instid1(VALU_DEP_2)
	v_fma_f64 v[8:9], v[8:9], v[4:5], v[12:13]
	v_fma_f64 v[6:7], v[4:5], v[10:11], -v[6:7]
	s_delay_alu instid0(VALU_DEP_2) | instskip(NEXT) | instid1(VALU_DEP_2)
	v_mul_f64_e32 v[4:5], s[2:3], v[8:9]
	v_mul_f64_e32 v[6:7], s[2:3], v[6:7]
	global_store_b128 v[0:1], v[4:7], off
	global_load_b128 v[4:7], v[18:19], off offset:672
	ds_load_b128 v[8:11], v221 offset:672
	ds_load_b128 v[12:15], v221 offset:1072
	v_add_co_u32 v0, vcc_lo, v0, s6
	s_wait_alu 0xfffd
	v_add_co_ci_u32_e32 v1, vcc_lo, s7, v1, vcc_lo
	s_wait_loadcnt_dscnt 0x1
	v_mul_f64_e32 v[16:17], v[10:11], v[6:7]
	v_mul_f64_e32 v[6:7], v[8:9], v[6:7]
	s_delay_alu instid0(VALU_DEP_2) | instskip(NEXT) | instid1(VALU_DEP_2)
	v_fma_f64 v[8:9], v[8:9], v[4:5], v[16:17]
	v_fma_f64 v[6:7], v[4:5], v[10:11], -v[6:7]
	s_delay_alu instid0(VALU_DEP_2) | instskip(NEXT) | instid1(VALU_DEP_2)
	v_mul_f64_e32 v[4:5], s[2:3], v[8:9]
	v_mul_f64_e32 v[6:7], s[2:3], v[6:7]
	global_store_b128 v[0:1], v[4:7], off
	global_load_b128 v[4:7], v[18:19], off offset:1072
	v_add_co_u32 v0, vcc_lo, v0, s6
	s_wait_alu 0xfffd
	v_add_co_ci_u32_e32 v1, vcc_lo, s7, v1, vcc_lo
	s_wait_loadcnt_dscnt 0x0
	v_mul_f64_e32 v[8:9], v[14:15], v[6:7]
	v_mul_f64_e32 v[6:7], v[12:13], v[6:7]
	s_delay_alu instid0(VALU_DEP_2) | instskip(NEXT) | instid1(VALU_DEP_2)
	v_fma_f64 v[8:9], v[12:13], v[4:5], v[8:9]
	v_fma_f64 v[6:7], v[4:5], v[14:15], -v[6:7]
	s_delay_alu instid0(VALU_DEP_2) | instskip(NEXT) | instid1(VALU_DEP_2)
	v_mul_f64_e32 v[4:5], s[2:3], v[8:9]
	v_mul_f64_e32 v[6:7], s[2:3], v[6:7]
	global_store_b128 v[0:1], v[4:7], off
	global_load_b128 v[4:7], v[18:19], off offset:1472
	ds_load_b128 v[8:11], v221 offset:1472
	ds_load_b128 v[12:15], v221 offset:1872
	v_add_co_u32 v0, vcc_lo, v0, s6
	s_wait_alu 0xfffd
	v_add_co_ci_u32_e32 v1, vcc_lo, s7, v1, vcc_lo
	s_wait_loadcnt_dscnt 0x1
	v_mul_f64_e32 v[16:17], v[10:11], v[6:7]
	v_mul_f64_e32 v[6:7], v[8:9], v[6:7]
	s_delay_alu instid0(VALU_DEP_2) | instskip(NEXT) | instid1(VALU_DEP_2)
	v_fma_f64 v[8:9], v[8:9], v[4:5], v[16:17]
	v_fma_f64 v[6:7], v[4:5], v[10:11], -v[6:7]
	s_delay_alu instid0(VALU_DEP_2) | instskip(NEXT) | instid1(VALU_DEP_2)
	v_mul_f64_e32 v[4:5], s[2:3], v[8:9]
	v_mul_f64_e32 v[6:7], s[2:3], v[6:7]
	global_store_b128 v[0:1], v[4:7], off
	global_load_b128 v[4:7], v[18:19], off offset:1872
	v_add_co_u32 v0, vcc_lo, v0, s6
	s_wait_alu 0xfffd
	v_add_co_ci_u32_e32 v1, vcc_lo, s7, v1, vcc_lo
	;; [unrolled: 30-line block ×3, first 2 shown]
	s_wait_loadcnt_dscnt 0x0
	v_mul_f64_e32 v[8:9], v[14:15], v[6:7]
	v_mul_f64_e32 v[6:7], v[12:13], v[6:7]
	s_delay_alu instid0(VALU_DEP_2) | instskip(NEXT) | instid1(VALU_DEP_2)
	v_fma_f64 v[8:9], v[12:13], v[4:5], v[8:9]
	v_fma_f64 v[6:7], v[4:5], v[14:15], -v[6:7]
	s_delay_alu instid0(VALU_DEP_2) | instskip(NEXT) | instid1(VALU_DEP_2)
	v_mul_f64_e32 v[4:5], s[2:3], v[8:9]
	v_mul_f64_e32 v[6:7], s[2:3], v[6:7]
	global_store_b128 v[0:1], v[4:7], off
	global_load_b128 v[4:7], v[18:19], off offset:3072
	ds_load_b128 v[8:11], v221 offset:3072
	ds_load_b128 v[12:15], v221 offset:3472
	v_mad_co_u64_u32 v[0:1], null, 0x320, s4, v[0:1]
	s_wait_alu 0xfffe
	s_delay_alu instid0(VALU_DEP_1) | instskip(SKIP_3) | instid1(VALU_DEP_2)
	v_add_nc_u32_e32 v1, s0, v1
	s_wait_loadcnt_dscnt 0x1
	v_mul_f64_e32 v[16:17], v[10:11], v[6:7]
	v_mul_f64_e32 v[6:7], v[8:9], v[6:7]
	v_fma_f64 v[8:9], v[8:9], v[4:5], v[16:17]
	scratch_load_b32 v16, off, off offset:1392 th:TH_LOAD_LU ; 4-byte Folded Reload
	v_fma_f64 v[6:7], v[4:5], v[10:11], -v[6:7]
	v_mul_f64_e32 v[4:5], s[2:3], v[8:9]
	s_delay_alu instid0(VALU_DEP_2) | instskip(SKIP_2) | instid1(VALU_DEP_1)
	v_mul_f64_e32 v[6:7], s[2:3], v[6:7]
	s_wait_loadcnt 0x0
	v_mad_co_u64_u32 v[10:11], null, s4, v16, 0
	v_mov_b32_e32 v8, v11
	s_delay_alu instid0(VALU_DEP_1) | instskip(NEXT) | instid1(VALU_DEP_1)
	v_mad_co_u64_u32 v[8:9], null, s5, v16, v[8:9]
	v_mov_b32_e32 v11, v8
	s_delay_alu instid0(VALU_DEP_1) | instskip(NEXT) | instid1(VALU_DEP_1)
	v_lshlrev_b64_e32 v[8:9], 4, v[10:11]
	v_add_co_u32 v8, vcc_lo, v2, v8
	s_wait_alu 0xfffd
	s_delay_alu instid0(VALU_DEP_2)
	v_add_co_ci_u32_e32 v9, vcc_lo, v3, v9, vcc_lo
	global_store_b128 v[8:9], v[4:7], off
	global_load_b128 v[4:7], v[18:19], off offset:3472
	s_wait_loadcnt_dscnt 0x0
	v_mul_f64_e32 v[8:9], v[14:15], v[6:7]
	v_mul_f64_e32 v[6:7], v[12:13], v[6:7]
	s_delay_alu instid0(VALU_DEP_2) | instskip(NEXT) | instid1(VALU_DEP_2)
	v_fma_f64 v[8:9], v[12:13], v[4:5], v[8:9]
	v_fma_f64 v[6:7], v[4:5], v[14:15], -v[6:7]
	s_delay_alu instid0(VALU_DEP_2) | instskip(NEXT) | instid1(VALU_DEP_2)
	v_mul_f64_e32 v[4:5], s[2:3], v[8:9]
	v_mul_f64_e32 v[6:7], s[2:3], v[6:7]
	global_store_b128 v[0:1], v[4:7], off
	global_load_b128 v[4:7], v[18:19], off offset:3872
	ds_load_b128 v[8:11], v221 offset:3872
	ds_load_b128 v[12:15], v221 offset:4272
	v_add_co_u32 v0, vcc_lo, v0, s6
	s_wait_alu 0xfffd
	v_add_co_ci_u32_e32 v1, vcc_lo, s7, v1, vcc_lo
	s_wait_loadcnt_dscnt 0x1
	v_mul_f64_e32 v[16:17], v[10:11], v[6:7]
	v_mul_f64_e32 v[6:7], v[8:9], v[6:7]
	s_delay_alu instid0(VALU_DEP_2) | instskip(NEXT) | instid1(VALU_DEP_2)
	v_fma_f64 v[8:9], v[8:9], v[4:5], v[16:17]
	v_fma_f64 v[6:7], v[4:5], v[10:11], -v[6:7]
	s_delay_alu instid0(VALU_DEP_2) | instskip(NEXT) | instid1(VALU_DEP_2)
	v_mul_f64_e32 v[4:5], s[2:3], v[8:9]
	v_mul_f64_e32 v[6:7], s[2:3], v[6:7]
	global_store_b128 v[0:1], v[4:7], off
	global_load_b128 v[4:7], v[18:19], off offset:4272
	v_add_co_u32 v0, vcc_lo, v0, s6
	s_wait_alu 0xfffd
	v_add_co_ci_u32_e32 v1, vcc_lo, s7, v1, vcc_lo
	s_wait_loadcnt_dscnt 0x0
	v_mul_f64_e32 v[8:9], v[14:15], v[6:7]
	v_mul_f64_e32 v[6:7], v[12:13], v[6:7]
	s_delay_alu instid0(VALU_DEP_2) | instskip(NEXT) | instid1(VALU_DEP_2)
	v_fma_f64 v[8:9], v[12:13], v[4:5], v[8:9]
	v_fma_f64 v[6:7], v[4:5], v[14:15], -v[6:7]
	s_delay_alu instid0(VALU_DEP_2) | instskip(NEXT) | instid1(VALU_DEP_2)
	v_mul_f64_e32 v[4:5], s[2:3], v[8:9]
	v_mul_f64_e32 v[6:7], s[2:3], v[6:7]
	global_store_b128 v[0:1], v[4:7], off
	global_load_b128 v[4:7], v[18:19], off offset:4672
	ds_load_b128 v[8:11], v221 offset:4672
	ds_load_b128 v[12:15], v221 offset:5072
	v_add_co_u32 v0, vcc_lo, v0, s6
	s_wait_alu 0xfffd
	v_add_co_ci_u32_e32 v1, vcc_lo, s7, v1, vcc_lo
	s_wait_loadcnt_dscnt 0x1
	v_mul_f64_e32 v[16:17], v[10:11], v[6:7]
	v_mul_f64_e32 v[6:7], v[8:9], v[6:7]
	s_delay_alu instid0(VALU_DEP_2) | instskip(NEXT) | instid1(VALU_DEP_2)
	v_fma_f64 v[8:9], v[8:9], v[4:5], v[16:17]
	v_fma_f64 v[6:7], v[4:5], v[10:11], -v[6:7]
	s_delay_alu instid0(VALU_DEP_2) | instskip(NEXT) | instid1(VALU_DEP_2)
	v_mul_f64_e32 v[4:5], s[2:3], v[8:9]
	v_mul_f64_e32 v[6:7], s[2:3], v[6:7]
	global_store_b128 v[0:1], v[4:7], off
	global_load_b128 v[4:7], v[18:19], off offset:5072
	v_add_co_u32 v0, vcc_lo, v0, s6
	s_wait_alu 0xfffd
	v_add_co_ci_u32_e32 v1, vcc_lo, s7, v1, vcc_lo
	s_wait_loadcnt_dscnt 0x0
	v_mul_f64_e32 v[8:9], v[14:15], v[6:7]
	v_mul_f64_e32 v[6:7], v[12:13], v[6:7]
	s_delay_alu instid0(VALU_DEP_2) | instskip(NEXT) | instid1(VALU_DEP_2)
	v_fma_f64 v[8:9], v[12:13], v[4:5], v[8:9]
	v_fma_f64 v[6:7], v[4:5], v[14:15], -v[6:7]
	s_delay_alu instid0(VALU_DEP_2) | instskip(NEXT) | instid1(VALU_DEP_2)
	v_mul_f64_e32 v[4:5], s[2:3], v[8:9]
	v_mul_f64_e32 v[6:7], s[2:3], v[6:7]
	global_store_b128 v[0:1], v[4:7], off
	global_load_b128 v[4:7], v[18:19], off offset:5472
	ds_load_b128 v[8:11], v221 offset:5472
	ds_load_b128 v[12:15], v221 offset:5872
	v_add_co_u32 v0, vcc_lo, v0, s6
	s_wait_alu 0xfffd
	v_add_co_ci_u32_e32 v1, vcc_lo, s7, v1, vcc_lo
	s_wait_loadcnt_dscnt 0x1
	v_mul_f64_e32 v[16:17], v[10:11], v[6:7]
	v_mul_f64_e32 v[6:7], v[8:9], v[6:7]
	s_delay_alu instid0(VALU_DEP_2) | instskip(NEXT) | instid1(VALU_DEP_2)
	v_fma_f64 v[8:9], v[8:9], v[4:5], v[16:17]
	v_fma_f64 v[6:7], v[4:5], v[10:11], -v[6:7]
	v_add_co_u32 v16, vcc_lo, v0, s6
	s_wait_alu 0xfffd
	v_add_co_ci_u32_e32 v17, vcc_lo, s7, v1, vcc_lo
	s_delay_alu instid0(VALU_DEP_4) | instskip(NEXT) | instid1(VALU_DEP_4)
	v_mul_f64_e32 v[4:5], s[2:3], v[8:9]
	v_mul_f64_e32 v[6:7], s[2:3], v[6:7]
	global_store_b128 v[0:1], v[4:7], off
	global_load_b128 v[4:7], v[18:19], off offset:5872
	s_wait_loadcnt_dscnt 0x0
	v_mul_f64_e32 v[8:9], v[14:15], v[6:7]
	v_mul_f64_e32 v[6:7], v[12:13], v[6:7]
	s_delay_alu instid0(VALU_DEP_2) | instskip(NEXT) | instid1(VALU_DEP_2)
	v_fma_f64 v[8:9], v[12:13], v[4:5], v[8:9]
	v_fma_f64 v[6:7], v[4:5], v[14:15], -v[6:7]
	s_delay_alu instid0(VALU_DEP_2) | instskip(NEXT) | instid1(VALU_DEP_2)
	v_mul_f64_e32 v[4:5], s[2:3], v[8:9]
	v_mul_f64_e32 v[6:7], s[2:3], v[6:7]
	global_store_b128 v[16:17], v[4:7], off
	global_load_b128 v[4:7], v[18:19], off offset:6272
	ds_load_b128 v[8:11], v221 offset:6272
	ds_load_b128 v[12:15], v221 offset:6672
	s_wait_loadcnt_dscnt 0x1
	v_mul_f64_e32 v[0:1], v[10:11], v[6:7]
	v_mul_f64_e32 v[6:7], v[8:9], v[6:7]
	s_delay_alu instid0(VALU_DEP_2) | instskip(NEXT) | instid1(VALU_DEP_2)
	v_fma_f64 v[0:1], v[8:9], v[4:5], v[0:1]
	v_fma_f64 v[6:7], v[4:5], v[10:11], -v[6:7]
	scratch_load_b32 v10, off, off offset:1388 th:TH_LOAD_LU ; 4-byte Folded Reload
	v_mul_f64_e32 v[4:5], s[2:3], v[0:1]
	v_mul_f64_e32 v[6:7], s[2:3], v[6:7]
	s_wait_loadcnt 0x0
	v_mad_co_u64_u32 v[8:9], null, s4, v10, 0
	s_delay_alu instid0(VALU_DEP_1) | instskip(NEXT) | instid1(VALU_DEP_1)
	v_mov_b32_e32 v0, v9
	v_mad_co_u64_u32 v[0:1], null, s5, v10, v[0:1]
	s_delay_alu instid0(VALU_DEP_1) | instskip(NEXT) | instid1(VALU_DEP_1)
	v_mov_b32_e32 v9, v0
	v_lshlrev_b64_e32 v[0:1], 4, v[8:9]
	s_delay_alu instid0(VALU_DEP_1) | instskip(SKIP_1) | instid1(VALU_DEP_2)
	v_add_co_u32 v0, vcc_lo, v2, v0
	s_wait_alu 0xfffd
	v_add_co_ci_u32_e32 v1, vcc_lo, v3, v1, vcc_lo
	global_store_b128 v[0:1], v[4:7], off
	global_load_b128 v[0:3], v[18:19], off offset:6672
	s_wait_loadcnt_dscnt 0x0
	v_mul_f64_e32 v[4:5], v[14:15], v[2:3]
	v_mul_f64_e32 v[2:3], v[12:13], v[2:3]
	s_delay_alu instid0(VALU_DEP_2) | instskip(NEXT) | instid1(VALU_DEP_2)
	v_fma_f64 v[4:5], v[12:13], v[0:1], v[4:5]
	v_fma_f64 v[2:3], v[0:1], v[14:15], -v[2:3]
	s_delay_alu instid0(VALU_DEP_2) | instskip(NEXT) | instid1(VALU_DEP_2)
	v_mul_f64_e32 v[0:1], s[2:3], v[4:5]
	v_mul_f64_e32 v[2:3], s[2:3], v[2:3]
	v_mad_co_u64_u32 v[4:5], null, 0x320, s4, v[16:17]
	s_delay_alu instid0(VALU_DEP_1)
	v_add_nc_u32_e32 v5, s0, v5
	global_store_b128 v[4:5], v[0:3], off
.LBB0_15:
	s_nop 0
	s_sendmsg sendmsg(MSG_DEALLOC_VGPRS)
	s_endpgm
	.section	.rodata,"a",@progbits
	.p2align	6, 0x0
	.amdhsa_kernel bluestein_single_back_len425_dim1_dp_op_CI_CI
		.amdhsa_group_segment_fixed_size 20400
		.amdhsa_private_segment_fixed_size 1556
		.amdhsa_kernarg_size 104
		.amdhsa_user_sgpr_count 2
		.amdhsa_user_sgpr_dispatch_ptr 0
		.amdhsa_user_sgpr_queue_ptr 0
		.amdhsa_user_sgpr_kernarg_segment_ptr 1
		.amdhsa_user_sgpr_dispatch_id 0
		.amdhsa_user_sgpr_private_segment_size 0
		.amdhsa_wavefront_size32 1
		.amdhsa_uses_dynamic_stack 0
		.amdhsa_enable_private_segment 1
		.amdhsa_system_sgpr_workgroup_id_x 1
		.amdhsa_system_sgpr_workgroup_id_y 0
		.amdhsa_system_sgpr_workgroup_id_z 0
		.amdhsa_system_sgpr_workgroup_info 0
		.amdhsa_system_vgpr_workitem_id 0
		.amdhsa_next_free_vgpr 256
		.amdhsa_next_free_sgpr 60
		.amdhsa_reserve_vcc 1
		.amdhsa_float_round_mode_32 0
		.amdhsa_float_round_mode_16_64 0
		.amdhsa_float_denorm_mode_32 3
		.amdhsa_float_denorm_mode_16_64 3
		.amdhsa_fp16_overflow 0
		.amdhsa_workgroup_processor_mode 1
		.amdhsa_memory_ordered 1
		.amdhsa_forward_progress 0
		.amdhsa_round_robin_scheduling 0
		.amdhsa_exception_fp_ieee_invalid_op 0
		.amdhsa_exception_fp_denorm_src 0
		.amdhsa_exception_fp_ieee_div_zero 0
		.amdhsa_exception_fp_ieee_overflow 0
		.amdhsa_exception_fp_ieee_underflow 0
		.amdhsa_exception_fp_ieee_inexact 0
		.amdhsa_exception_int_div_zero 0
	.end_amdhsa_kernel
	.text
.Lfunc_end0:
	.size	bluestein_single_back_len425_dim1_dp_op_CI_CI, .Lfunc_end0-bluestein_single_back_len425_dim1_dp_op_CI_CI
                                        ; -- End function
	.section	.AMDGPU.csdata,"",@progbits
; Kernel info:
; codeLenInByte = 47580
; NumSgprs: 62
; NumVgprs: 256
; ScratchSize: 1556
; MemoryBound: 0
; FloatMode: 240
; IeeeMode: 1
; LDSByteSize: 20400 bytes/workgroup (compile time only)
; SGPRBlocks: 7
; VGPRBlocks: 31
; NumSGPRsForWavesPerEU: 62
; NumVGPRsForWavesPerEU: 256
; Occupancy: 3
; WaveLimiterHint : 1
; COMPUTE_PGM_RSRC2:SCRATCH_EN: 1
; COMPUTE_PGM_RSRC2:USER_SGPR: 2
; COMPUTE_PGM_RSRC2:TRAP_HANDLER: 0
; COMPUTE_PGM_RSRC2:TGID_X_EN: 1
; COMPUTE_PGM_RSRC2:TGID_Y_EN: 0
; COMPUTE_PGM_RSRC2:TGID_Z_EN: 0
; COMPUTE_PGM_RSRC2:TIDIG_COMP_CNT: 0
	.text
	.p2alignl 7, 3214868480
	.fill 96, 4, 3214868480
	.type	__hip_cuid_b849b24e6b3faebd,@object ; @__hip_cuid_b849b24e6b3faebd
	.section	.bss,"aw",@nobits
	.globl	__hip_cuid_b849b24e6b3faebd
__hip_cuid_b849b24e6b3faebd:
	.byte	0                               ; 0x0
	.size	__hip_cuid_b849b24e6b3faebd, 1

	.ident	"AMD clang version 19.0.0git (https://github.com/RadeonOpenCompute/llvm-project roc-6.4.0 25133 c7fe45cf4b819c5991fe208aaa96edf142730f1d)"
	.section	".note.GNU-stack","",@progbits
	.addrsig
	.addrsig_sym __hip_cuid_b849b24e6b3faebd
	.amdgpu_metadata
---
amdhsa.kernels:
  - .args:
      - .actual_access:  read_only
        .address_space:  global
        .offset:         0
        .size:           8
        .value_kind:     global_buffer
      - .actual_access:  read_only
        .address_space:  global
        .offset:         8
        .size:           8
        .value_kind:     global_buffer
      - .actual_access:  read_only
        .address_space:  global
        .offset:         16
        .size:           8
        .value_kind:     global_buffer
      - .actual_access:  read_only
        .address_space:  global
        .offset:         24
        .size:           8
        .value_kind:     global_buffer
      - .actual_access:  read_only
        .address_space:  global
        .offset:         32
        .size:           8
        .value_kind:     global_buffer
      - .offset:         40
        .size:           8
        .value_kind:     by_value
      - .address_space:  global
        .offset:         48
        .size:           8
        .value_kind:     global_buffer
      - .address_space:  global
        .offset:         56
        .size:           8
        .value_kind:     global_buffer
      - .address_space:  global
        .offset:         64
        .size:           8
        .value_kind:     global_buffer
      - .address_space:  global
        .offset:         72
        .size:           8
        .value_kind:     global_buffer
      - .offset:         80
        .size:           4
        .value_kind:     by_value
      - .address_space:  global
        .offset:         88
        .size:           8
        .value_kind:     global_buffer
      - .address_space:  global
        .offset:         96
        .size:           8
        .value_kind:     global_buffer
    .group_segment_fixed_size: 20400
    .kernarg_segment_align: 8
    .kernarg_segment_size: 104
    .language:       OpenCL C
    .language_version:
      - 2
      - 0
    .max_flat_workgroup_size: 51
    .name:           bluestein_single_back_len425_dim1_dp_op_CI_CI
    .private_segment_fixed_size: 1556
    .sgpr_count:     62
    .sgpr_spill_count: 0
    .symbol:         bluestein_single_back_len425_dim1_dp_op_CI_CI.kd
    .uniform_work_group_size: 1
    .uses_dynamic_stack: false
    .vgpr_count:     256
    .vgpr_spill_count: 597
    .wavefront_size: 32
    .workgroup_processor_mode: 1
amdhsa.target:   amdgcn-amd-amdhsa--gfx1201
amdhsa.version:
  - 1
  - 2
...

	.end_amdgpu_metadata
